;; amdgpu-corpus repo=ROCm/rocFFT kind=compiled arch=gfx906 opt=O3
	.text
	.amdgcn_target "amdgcn-amd-amdhsa--gfx906"
	.amdhsa_code_object_version 6
	.protected	fft_rtc_back_len2560_factors_4_4_4_10_4_wgs_128_tpt_128_halfLds_dp_ip_CI_unitstride_sbrr_dirReg ; -- Begin function fft_rtc_back_len2560_factors_4_4_4_10_4_wgs_128_tpt_128_halfLds_dp_ip_CI_unitstride_sbrr_dirReg
	.globl	fft_rtc_back_len2560_factors_4_4_4_10_4_wgs_128_tpt_128_halfLds_dp_ip_CI_unitstride_sbrr_dirReg
	.p2align	8
	.type	fft_rtc_back_len2560_factors_4_4_4_10_4_wgs_128_tpt_128_halfLds_dp_ip_CI_unitstride_sbrr_dirReg,@function
fft_rtc_back_len2560_factors_4_4_4_10_4_wgs_128_tpt_128_halfLds_dp_ip_CI_unitstride_sbrr_dirReg: ; @fft_rtc_back_len2560_factors_4_4_4_10_4_wgs_128_tpt_128_halfLds_dp_ip_CI_unitstride_sbrr_dirReg
; %bb.0:
	s_load_dwordx4 s[8:11], s[4:5], 0x0
	s_load_dwordx2 s[2:3], s[4:5], 0x50
	s_load_dwordx2 s[12:13], s[4:5], 0x18
	v_mov_b32_e32 v3, 0
	v_mov_b32_e32 v1, 0
	s_waitcnt lgkmcnt(0)
	v_cmp_lt_u64_e64 s[0:1], s[10:11], 2
	v_mov_b32_e32 v5, s6
	v_mov_b32_e32 v6, v3
	s_and_b64 vcc, exec, s[0:1]
	v_mov_b32_e32 v2, 0
	s_cbranch_vccnz .LBB0_8
; %bb.1:
	s_load_dwordx2 s[0:1], s[4:5], 0x10
	s_add_u32 s6, s12, 8
	s_addc_u32 s7, s13, 0
	v_mov_b32_e32 v1, 0
	v_mov_b32_e32 v2, 0
	s_waitcnt lgkmcnt(0)
	s_add_u32 s14, s0, 8
	s_addc_u32 s15, s1, 0
	s_mov_b64 s[16:17], 1
.LBB0_2:                                ; =>This Inner Loop Header: Depth=1
	s_load_dwordx2 s[18:19], s[14:15], 0x0
                                        ; implicit-def: $vgpr7_vgpr8
	s_waitcnt lgkmcnt(0)
	v_or_b32_e32 v4, s19, v6
	v_cmp_ne_u64_e32 vcc, 0, v[3:4]
	s_and_saveexec_b64 s[0:1], vcc
	s_xor_b64 s[20:21], exec, s[0:1]
	s_cbranch_execz .LBB0_4
; %bb.3:                                ;   in Loop: Header=BB0_2 Depth=1
	v_cvt_f32_u32_e32 v4, s18
	v_cvt_f32_u32_e32 v7, s19
	s_sub_u32 s0, 0, s18
	s_subb_u32 s1, 0, s19
	v_mac_f32_e32 v4, 0x4f800000, v7
	v_rcp_f32_e32 v4, v4
	v_mul_f32_e32 v4, 0x5f7ffffc, v4
	v_mul_f32_e32 v7, 0x2f800000, v4
	v_trunc_f32_e32 v7, v7
	v_mac_f32_e32 v4, 0xcf800000, v7
	v_cvt_u32_f32_e32 v7, v7
	v_cvt_u32_f32_e32 v4, v4
	v_mul_lo_u32 v8, s0, v7
	v_mul_hi_u32 v9, s0, v4
	v_mul_lo_u32 v11, s1, v4
	v_mul_lo_u32 v10, s0, v4
	v_add_u32_e32 v8, v9, v8
	v_add_u32_e32 v8, v8, v11
	v_mul_hi_u32 v9, v4, v10
	v_mul_lo_u32 v11, v4, v8
	v_mul_hi_u32 v13, v4, v8
	v_mul_hi_u32 v12, v7, v10
	v_mul_lo_u32 v10, v7, v10
	v_mul_hi_u32 v14, v7, v8
	v_add_co_u32_e32 v9, vcc, v9, v11
	v_addc_co_u32_e32 v11, vcc, 0, v13, vcc
	v_mul_lo_u32 v8, v7, v8
	v_add_co_u32_e32 v9, vcc, v9, v10
	v_addc_co_u32_e32 v9, vcc, v11, v12, vcc
	v_addc_co_u32_e32 v10, vcc, 0, v14, vcc
	v_add_co_u32_e32 v8, vcc, v9, v8
	v_addc_co_u32_e32 v9, vcc, 0, v10, vcc
	v_add_co_u32_e32 v4, vcc, v4, v8
	v_addc_co_u32_e32 v7, vcc, v7, v9, vcc
	v_mul_lo_u32 v8, s0, v7
	v_mul_hi_u32 v9, s0, v4
	v_mul_lo_u32 v10, s1, v4
	v_mul_lo_u32 v11, s0, v4
	v_add_u32_e32 v8, v9, v8
	v_add_u32_e32 v8, v8, v10
	v_mul_lo_u32 v12, v4, v8
	v_mul_hi_u32 v13, v4, v11
	v_mul_hi_u32 v14, v4, v8
	;; [unrolled: 1-line block ×3, first 2 shown]
	v_mul_lo_u32 v11, v7, v11
	v_mul_hi_u32 v9, v7, v8
	v_add_co_u32_e32 v12, vcc, v13, v12
	v_addc_co_u32_e32 v13, vcc, 0, v14, vcc
	v_mul_lo_u32 v8, v7, v8
	v_add_co_u32_e32 v11, vcc, v12, v11
	v_addc_co_u32_e32 v10, vcc, v13, v10, vcc
	v_addc_co_u32_e32 v9, vcc, 0, v9, vcc
	v_add_co_u32_e32 v8, vcc, v10, v8
	v_addc_co_u32_e32 v9, vcc, 0, v9, vcc
	v_add_co_u32_e32 v4, vcc, v4, v8
	v_addc_co_u32_e32 v9, vcc, v7, v9, vcc
	v_mad_u64_u32 v[7:8], s[0:1], v5, v9, 0
	v_mul_hi_u32 v10, v5, v4
	v_add_co_u32_e32 v11, vcc, v10, v7
	v_addc_co_u32_e32 v12, vcc, 0, v8, vcc
	v_mad_u64_u32 v[7:8], s[0:1], v6, v4, 0
	v_mad_u64_u32 v[9:10], s[0:1], v6, v9, 0
	v_add_co_u32_e32 v4, vcc, v11, v7
	v_addc_co_u32_e32 v4, vcc, v12, v8, vcc
	v_addc_co_u32_e32 v7, vcc, 0, v10, vcc
	v_add_co_u32_e32 v4, vcc, v4, v9
	v_addc_co_u32_e32 v9, vcc, 0, v7, vcc
	v_mul_lo_u32 v10, s19, v4
	v_mul_lo_u32 v11, s18, v9
	v_mad_u64_u32 v[7:8], s[0:1], s18, v4, 0
	v_add3_u32 v8, v8, v11, v10
	v_sub_u32_e32 v10, v6, v8
	v_mov_b32_e32 v11, s19
	v_sub_co_u32_e32 v7, vcc, v5, v7
	v_subb_co_u32_e64 v10, s[0:1], v10, v11, vcc
	v_subrev_co_u32_e64 v11, s[0:1], s18, v7
	v_subbrev_co_u32_e64 v10, s[0:1], 0, v10, s[0:1]
	v_cmp_le_u32_e64 s[0:1], s19, v10
	v_cndmask_b32_e64 v12, 0, -1, s[0:1]
	v_cmp_le_u32_e64 s[0:1], s18, v11
	v_cndmask_b32_e64 v11, 0, -1, s[0:1]
	v_cmp_eq_u32_e64 s[0:1], s19, v10
	v_cndmask_b32_e64 v10, v12, v11, s[0:1]
	v_add_co_u32_e64 v11, s[0:1], 2, v4
	v_addc_co_u32_e64 v12, s[0:1], 0, v9, s[0:1]
	v_add_co_u32_e64 v13, s[0:1], 1, v4
	v_addc_co_u32_e64 v14, s[0:1], 0, v9, s[0:1]
	v_subb_co_u32_e32 v8, vcc, v6, v8, vcc
	v_cmp_ne_u32_e64 s[0:1], 0, v10
	v_cmp_le_u32_e32 vcc, s19, v8
	v_cndmask_b32_e64 v10, v14, v12, s[0:1]
	v_cndmask_b32_e64 v12, 0, -1, vcc
	v_cmp_le_u32_e32 vcc, s18, v7
	v_cndmask_b32_e64 v7, 0, -1, vcc
	v_cmp_eq_u32_e32 vcc, s19, v8
	v_cndmask_b32_e32 v7, v12, v7, vcc
	v_cmp_ne_u32_e32 vcc, 0, v7
	v_cndmask_b32_e64 v7, v13, v11, s[0:1]
	v_cndmask_b32_e32 v8, v9, v10, vcc
	v_cndmask_b32_e32 v7, v4, v7, vcc
.LBB0_4:                                ;   in Loop: Header=BB0_2 Depth=1
	s_andn2_saveexec_b64 s[0:1], s[20:21]
	s_cbranch_execz .LBB0_6
; %bb.5:                                ;   in Loop: Header=BB0_2 Depth=1
	v_cvt_f32_u32_e32 v4, s18
	s_sub_i32 s20, 0, s18
	v_rcp_iflag_f32_e32 v4, v4
	v_mul_f32_e32 v4, 0x4f7ffffe, v4
	v_cvt_u32_f32_e32 v4, v4
	v_mul_lo_u32 v7, s20, v4
	v_mul_hi_u32 v7, v4, v7
	v_add_u32_e32 v4, v4, v7
	v_mul_hi_u32 v4, v5, v4
	v_mul_lo_u32 v7, v4, s18
	v_add_u32_e32 v8, 1, v4
	v_sub_u32_e32 v7, v5, v7
	v_subrev_u32_e32 v9, s18, v7
	v_cmp_le_u32_e32 vcc, s18, v7
	v_cndmask_b32_e32 v7, v7, v9, vcc
	v_cndmask_b32_e32 v4, v4, v8, vcc
	v_add_u32_e32 v8, 1, v4
	v_cmp_le_u32_e32 vcc, s18, v7
	v_cndmask_b32_e32 v7, v4, v8, vcc
	v_mov_b32_e32 v8, v3
.LBB0_6:                                ;   in Loop: Header=BB0_2 Depth=1
	s_or_b64 exec, exec, s[0:1]
	v_mul_lo_u32 v4, v8, s18
	v_mul_lo_u32 v11, v7, s19
	v_mad_u64_u32 v[9:10], s[0:1], v7, s18, 0
	s_load_dwordx2 s[0:1], s[6:7], 0x0
	s_add_u32 s16, s16, 1
	v_add3_u32 v4, v10, v11, v4
	v_sub_co_u32_e32 v5, vcc, v5, v9
	v_subb_co_u32_e32 v4, vcc, v6, v4, vcc
	s_waitcnt lgkmcnt(0)
	v_mul_lo_u32 v4, s0, v4
	v_mul_lo_u32 v6, s1, v5
	v_mad_u64_u32 v[1:2], s[0:1], s0, v5, v[1:2]
	s_addc_u32 s17, s17, 0
	s_add_u32 s6, s6, 8
	v_add3_u32 v2, v6, v2, v4
	v_mov_b32_e32 v4, s10
	v_mov_b32_e32 v5, s11
	s_addc_u32 s7, s7, 0
	v_cmp_ge_u64_e32 vcc, s[16:17], v[4:5]
	s_add_u32 s14, s14, 8
	s_addc_u32 s15, s15, 0
	s_cbranch_vccnz .LBB0_9
; %bb.7:                                ;   in Loop: Header=BB0_2 Depth=1
	v_mov_b32_e32 v5, v7
	v_mov_b32_e32 v6, v8
	s_branch .LBB0_2
.LBB0_8:
	v_mov_b32_e32 v8, v6
	v_mov_b32_e32 v7, v5
.LBB0_9:
	s_lshl_b64 s[0:1], s[10:11], 3
	s_add_u32 s0, s12, s0
	s_addc_u32 s1, s13, s1
	s_load_dwordx2 s[6:7], s[0:1], 0x0
	s_load_dwordx2 s[10:11], s[4:5], 0x20
                                        ; implicit-def: $vgpr84
                                        ; implicit-def: $vgpr85
                                        ; implicit-def: $vgpr86
                                        ; implicit-def: $vgpr87
	s_waitcnt lgkmcnt(0)
	v_mul_lo_u32 v3, s6, v8
	v_mul_lo_u32 v4, s7, v7
	v_mad_u64_u32 v[1:2], s[0:1], s6, v7, v[1:2]
	v_cmp_gt_u64_e32 vcc, s[10:11], v[7:8]
	v_cmp_le_u64_e64 s[0:1], s[10:11], v[7:8]
	v_add3_u32 v2, v4, v2, v3
	s_and_saveexec_b64 s[4:5], s[0:1]
	s_xor_b64 s[0:1], exec, s[4:5]
; %bb.10:
	v_or_b32_e32 v84, 0x80, v0
	v_or_b32_e32 v85, 0x100, v0
	;; [unrolled: 1-line block ×4, first 2 shown]
; %bb.11:
	s_or_saveexec_b64 s[4:5], s[0:1]
	v_lshlrev_b64 v[81:82], 4, v[1:2]
	v_lshlrev_b32_e32 v83, 4, v0
                                        ; implicit-def: $vgpr59_vgpr60
                                        ; implicit-def: $vgpr75_vgpr76
                                        ; implicit-def: $vgpr35_vgpr36
                                        ; implicit-def: $vgpr63_vgpr64
                                        ; implicit-def: $vgpr39_vgpr40
                                        ; implicit-def: $vgpr51_vgpr52
                                        ; implicit-def: $vgpr3_vgpr4
                                        ; implicit-def: $vgpr27_vgpr28
                                        ; implicit-def: $vgpr11_vgpr12
                                        ; implicit-def: $vgpr19_vgpr20
                                        ; implicit-def: $vgpr23_vgpr24
                                        ; implicit-def: $vgpr15_vgpr16
                                        ; implicit-def: $vgpr31_vgpr32
                                        ; implicit-def: $vgpr7_vgpr8
                                        ; implicit-def: $vgpr55_vgpr56
                                        ; implicit-def: $vgpr43_vgpr44
                                        ; implicit-def: $vgpr67_vgpr68
                                        ; implicit-def: $vgpr47_vgpr48
                                        ; implicit-def: $vgpr79_vgpr80
                                        ; implicit-def: $vgpr71_vgpr72
	s_xor_b64 exec, exec, s[4:5]
	s_cbranch_execz .LBB0_13
; %bb.12:
	v_mov_b32_e32 v1, s3
	v_add_co_u32_e64 v2, s[0:1], s2, v81
	v_addc_co_u32_e64 v1, s[0:1], v1, v82, s[0:1]
	v_add_co_u32_e64 v9, s[0:1], v2, v83
	v_addc_co_u32_e64 v10, s[0:1], 0, v1, s[0:1]
	v_or_b32_e32 v3, 0x2800, v83
	v_add_co_u32_e64 v11, s[0:1], v2, v3
	v_addc_co_u32_e64 v12, s[0:1], 0, v1, s[0:1]
	v_or_b32_e32 v3, 0x5000, v83
	;; [unrolled: 3-line block ×6, first 2 shown]
	v_add_co_u32_e64 v21, s[0:1], v2, v3
	v_or_b32_e32 v85, 0x100, v0
	v_addc_co_u32_e64 v22, s[0:1], 0, v1, s[0:1]
	v_lshlrev_b32_e32 v3, 4, v85
	v_add_co_u32_e64 v23, s[0:1], v2, v3
	v_addc_co_u32_e64 v24, s[0:1], 0, v1, s[0:1]
	v_or_b32_e32 v3, 0x3800, v83
	v_add_co_u32_e64 v29, s[0:1], v2, v3
	v_addc_co_u32_e64 v30, s[0:1], 0, v1, s[0:1]
	v_or_b32_e32 v3, 0x6000, v83
	v_add_co_u32_e64 v31, s[0:1], v2, v3
	v_addc_co_u32_e64 v32, s[0:1], 0, v1, s[0:1]
	v_or_b32_e32 v3, 0x8800, v83
	v_add_co_u32_e64 v88, s[0:1], v2, v3
	v_or_b32_e32 v86, 0x180, v0
	v_addc_co_u32_e64 v89, s[0:1], 0, v1, s[0:1]
	v_lshlrev_b32_e32 v3, 4, v86
	v_add_co_u32_e64 v90, s[0:1], v2, v3
	v_addc_co_u32_e64 v91, s[0:1], 0, v1, s[0:1]
	v_or_b32_e32 v3, 0x4000, v83
	v_add_co_u32_e64 v92, s[0:1], v2, v3
	v_addc_co_u32_e64 v93, s[0:1], 0, v1, s[0:1]
	v_or_b32_e32 v3, 0x6800, v83
	v_add_co_u32_e64 v94, s[0:1], v2, v3
	v_addc_co_u32_e64 v95, s[0:1], 0, v1, s[0:1]
	v_or_b32_e32 v3, 0x9000, v83
	;; [unrolled: 13-line block ×3, first 2 shown]
	v_add_co_u32_e64 v104, s[0:1], v2, v3
	v_addc_co_u32_e64 v105, s[0:1], 0, v1, s[0:1]
	global_load_dwordx4 v[57:60], v[11:12], off
	global_load_dwordx4 v[73:76], v[13:14], off
	;; [unrolled: 1-line block ×3, first 2 shown]
	global_load_dwordx4 v[45:48], v[9:10], off offset:2048
	global_load_dwordx4 v[77:80], v[15:16], off
	global_load_dwordx4 v[33:36], v[17:18], off
	;; [unrolled: 1-line block ×11, first 2 shown]
                                        ; kill: killed $vgpr31 killed $vgpr32
                                        ; kill: killed $vgpr21 killed $vgpr22
                                        ; kill: killed $vgpr11 killed $vgpr12
                                        ; kill: killed $vgpr90 killed $vgpr91
                                        ; kill: killed $vgpr29 killed $vgpr30
                                        ; kill: killed $vgpr19 killed $vgpr20
                                        ; kill: killed $vgpr9 killed $vgpr10
                                        ; kill: killed $vgpr94 killed $vgpr95
                                        ; kill: killed $vgpr88 killed $vgpr89
                                        ; kill: killed $vgpr23 killed $vgpr24
                                        ; kill: killed $vgpr13 killed $vgpr14
                                        ; kill: killed $vgpr15 killed $vgpr16
                                        ; kill: killed $vgpr17 killed $vgpr18
                                        ; kill: killed $vgpr92 killed $vgpr93
	s_nop 0
	global_load_dwordx4 v[29:32], v[96:97], off
	global_load_dwordx4 v[13:16], v[98:99], off
	;; [unrolled: 1-line block ×5, first 2 shown]
	v_or_b32_e32 v84, 0x80, v0
.LBB0_13:
	s_or_b64 exec, exec, s[4:5]
	s_waitcnt vmcnt(17)
	v_add_f64 v[73:74], v[69:70], -v[73:74]
	v_add_f64 v[75:76], v[71:72], -v[75:76]
	s_waitcnt vmcnt(15)
	v_add_f64 v[77:78], v[57:58], -v[77:78]
	v_add_f64 v[79:80], v[59:60], -v[79:80]
	;; [unrolled: 3-line block ×4, first 2 shown]
	v_fma_f64 v[61:62], v[69:70], 2.0, -v[73:74]
	v_fma_f64 v[69:70], v[71:72], 2.0, -v[75:76]
	;; [unrolled: 1-line block ×4, first 2 shown]
	s_waitcnt vmcnt(9)
	v_add_f64 v[92:93], v[41:42], -v[49:50]
	v_add_f64 v[94:95], v[43:44], -v[51:52]
	s_waitcnt vmcnt(8)
	v_add_f64 v[67:68], v[37:38], -v[53:54]
	v_add_f64 v[96:97], v[39:40], -v[55:56]
	v_fma_f64 v[71:72], v[45:46], 2.0, -v[88:89]
	v_fma_f64 v[46:47], v[47:48], 2.0, -v[90:91]
	v_add_f64 v[49:50], v[61:62], -v[57:58]
	v_add_f64 v[53:54], v[69:70], -v[59:60]
	v_fma_f64 v[35:36], v[35:36], 2.0, -v[65:66]
	v_fma_f64 v[41:42], v[41:42], 2.0, -v[92:93]
	;; [unrolled: 1-line block ×5, first 2 shown]
	v_add_f64 v[51:52], v[79:80], v[73:74]
	v_fma_f64 v[33:34], v[61:62], 2.0, -v[49:50]
	v_fma_f64 v[57:58], v[69:70], 2.0, -v[53:54]
	v_fma_f64 v[69:70], v[39:40], 2.0, -v[96:97]
	v_add_f64 v[61:62], v[46:47], -v[35:36]
	s_waitcnt vmcnt(5)
	v_add_f64 v[25:26], v[5:6], -v[25:26]
	v_add_f64 v[44:45], v[41:42], -v[43:44]
	;; [unrolled: 1-line block ×3, first 2 shown]
	s_waitcnt vmcnt(4)
	v_add_f64 v[29:30], v[1:2], -v[29:30]
	v_add_f64 v[31:32], v[3:4], -v[31:32]
	;; [unrolled: 1-line block ×4, first 2 shown]
	v_add_f64 v[39:40], v[65:66], v[88:89]
	v_add_f64 v[65:66], v[98:99], -v[69:70]
	v_fma_f64 v[35:36], v[73:74], 2.0, -v[51:52]
	v_fma_f64 v[73:74], v[46:47], 2.0, -v[61:62]
	;; [unrolled: 1-line block ×3, first 2 shown]
	v_add_f64 v[46:47], v[96:97], v[92:93]
	s_waitcnt vmcnt(1)
	v_add_f64 v[41:42], v[13:14], -v[17:18]
	v_add_f64 v[96:97], v[15:16], -v[19:20]
	s_waitcnt vmcnt(0)
	v_add_f64 v[17:18], v[9:10], -v[21:22]
	v_add_f64 v[19:20], v[11:12], -v[23:24]
	v_fma_f64 v[21:22], v[5:6], 2.0, -v[25:26]
	v_fma_f64 v[23:24], v[7:8], 2.0, -v[27:28]
	;; [unrolled: 1-line block ×11, first 2 shown]
	v_add_f64 v[1:2], v[21:22], -v[1:2]
	v_add_f64 v[5:6], v[23:24], -v[3:4]
	v_add_f64 v[3:4], v[31:32], v[25:26]
	v_add_f64 v[7:8], v[27:28], -v[29:30]
	v_add_f64 v[63:64], v[90:91], -v[63:64]
	;; [unrolled: 1-line block ×5, first 2 shown]
	v_add_f64 v[11:12], v[19:20], v[41:42]
	v_fma_f64 v[79:80], v[92:93], 2.0, -v[46:47]
	v_add_f64 v[15:16], v[96:97], -v[17:18]
	v_fma_f64 v[17:18], v[21:22], 2.0, -v[1:2]
	v_fma_f64 v[19:20], v[25:26], 2.0, -v[3:4]
	;; [unrolled: 1-line block ×10, first 2 shown]
	v_lshl_add_u32 v100, v0, 5, 0
	v_lshl_add_u32 v41, v84, 5, 0
	;; [unrolled: 1-line block ×3, first 2 shown]
	ds_write_b128 v100, v[33:36]
	ds_write_b128 v100, v[49:52] offset:16
	ds_write_b128 v41, v[69:72]
	ds_write_b128 v41, v[37:40] offset:16
	;; [unrolled: 2-line block ×3, first 2 shown]
	v_lshl_add_u32 v44, v86, 5, 0
	v_and_b32_e32 v34, 3, v0
	ds_write_b128 v44, v[17:20]
	ds_write_b128 v44, v[1:4] offset:16
	s_movk_i32 s0, 0xffe8
	v_mul_u32_u24_e32 v1, 3, v34
	v_fma_f64 v[31:32], v[96:97], 2.0, -v[15:16]
	v_lshl_add_u32 v45, v87, 5, 0
	v_mad_i32_i24 v42, v0, s0, v100
	v_mad_i32_i24 v33, v84, s0, v41
	v_lshlrev_b32_e32 v1, 4, v1
	ds_write_b128 v45, v[25:28]
	ds_write_b128 v45, v[9:12] offset:16
	s_waitcnt lgkmcnt(0)
	s_barrier
	ds_read2st64_b64 v[9:12], v42 offset1:10
	ds_read2st64_b64 v[17:20], v42 offset0:20 offset1:22
	ds_read2st64_b64 v[25:28], v42 offset0:28 offset1:30
	;; [unrolled: 1-line block ×4, first 2 shown]
	v_mad_i32_i24 v35, v85, s0, v43
	ds_read2st64_b64 v[77:80], v42 offset0:24 offset1:26
	v_mad_i32_i24 v37, v86, s0, v44
	ds_read2st64_b64 v[92:95], v42 offset0:16 offset1:18
	ds_read2st64_b64 v[96:99], v42 offset0:36 offset1:38
	v_mad_i32_i24 v39, v87, s0, v45
	ds_read_b64 v[108:109], v33
	ds_read_b64 v[110:111], v35
	;; [unrolled: 1-line block ×4, first 2 shown]
	s_waitcnt lgkmcnt(0)
	s_barrier
	ds_write_b128 v100, v[57:60]
	ds_write_b128 v100, v[53:56] offset:16
	ds_write_b128 v41, v[73:76]
	ds_write_b128 v41, v[61:64] offset:16
	;; [unrolled: 2-line block ×5, first 2 shown]
	s_waitcnt lgkmcnt(0)
	s_barrier
	global_load_dwordx4 v[13:16], v1, s[8:9]
	global_load_dwordx4 v[21:24], v1, s[8:9] offset:16
	global_load_dwordx4 v[29:32], v1, s[8:9] offset:32
	ds_read2st64_b64 v[50:53], v42 offset1:10
	ds_read2st64_b64 v[54:57], v42 offset0:20 offset1:22
	ds_read2st64_b64 v[58:61], v42 offset0:28 offset1:30
	;; [unrolled: 1-line block ×7, first 2 shown]
	v_lshlrev_b32_e32 v5, 2, v0
	s_movk_i32 s0, 0x1f0
	v_lshlrev_b32_e32 v4, 2, v84
	v_lshlrev_b32_e32 v3, 2, v85
	;; [unrolled: 1-line block ×4, first 2 shown]
	s_mov_b32 s10, 0x4755a5e
	s_mov_b32 s11, 0xbfe2cf23
	;; [unrolled: 1-line block ×13, first 2 shown]
	s_waitcnt vmcnt(2) lgkmcnt(7)
	v_mul_f64 v[6:7], v[52:53], v[15:16]
	v_mul_f64 v[66:67], v[11:12], v[15:16]
	s_waitcnt vmcnt(1) lgkmcnt(6)
	v_mul_f64 v[116:117], v[54:55], v[23:24]
	s_waitcnt vmcnt(0) lgkmcnt(5)
	v_mul_f64 v[120:121], v[60:61], v[31:32]
	v_mul_f64 v[118:119], v[17:18], v[23:24]
	s_waitcnt lgkmcnt(3)
	v_mul_f64 v[122:123], v[73:74], v[31:32]
	v_mul_f64 v[124:125], v[48:49], v[15:16]
	v_fma_f64 v[6:7], v[11:12], v[13:14], v[6:7]
	v_fma_f64 v[11:12], v[52:53], v[13:14], -v[66:67]
	v_mul_f64 v[52:53], v[56:57], v[23:24]
	v_fma_f64 v[17:18], v[17:18], v[21:22], v[116:117]
	v_mul_f64 v[66:67], v[19:20], v[23:24]
	v_fma_f64 v[116:117], v[27:28], v[29:30], v[120:121]
	v_mul_f64 v[27:28], v[27:28], v[31:32]
	v_fma_f64 v[54:55], v[54:55], v[21:22], -v[118:119]
	v_mul_f64 v[118:119], v[62:63], v[15:16]
	v_mul_f64 v[120:121], v[64:65], v[15:16]
	v_fma_f64 v[19:20], v[19:20], v[21:22], v[52:53]
	v_mul_f64 v[52:53], v[46:47], v[15:16]
	v_fma_f64 v[56:57], v[56:57], v[21:22], -v[66:67]
	v_mul_f64 v[66:67], v[69:70], v[31:32]
	v_fma_f64 v[27:28], v[60:61], v[29:30], -v[27:28]
	v_add_f64 v[17:18], v[9:10], -v[17:18]
	v_fma_f64 v[46:47], v[46:47], v[13:14], v[118:119]
	v_fma_f64 v[48:49], v[48:49], v[13:14], v[120:121]
	v_mul_f64 v[118:119], v[75:76], v[31:32]
	v_fma_f64 v[52:53], v[62:63], v[13:14], -v[52:53]
	v_fma_f64 v[62:63], v[69:70], v[29:30], v[122:123]
	v_mul_f64 v[68:69], v[71:72], v[31:32]
	v_fma_f64 v[66:67], v[73:74], v[29:30], -v[66:67]
	s_waitcnt lgkmcnt(2)
	v_mul_f64 v[73:74], v[88:89], v[23:24]
	v_mul_f64 v[120:121], v[77:78], v[23:24]
	v_add_f64 v[54:55], v[50:51], -v[54:55]
	v_add_f64 v[27:28], v[11:12], -v[27:28]
	v_fma_f64 v[64:65], v[64:65], v[13:14], -v[124:125]
	v_fma_f64 v[70:71], v[71:72], v[29:30], v[118:119]
	s_waitcnt lgkmcnt(1)
	v_mul_f64 v[118:119], v[100:101], v[15:16]
	v_mul_f64 v[122:123], v[90:91], v[23:24]
	v_fma_f64 v[68:69], v[75:76], v[29:30], -v[68:69]
	v_mul_f64 v[75:76], v[79:80], v[23:24]
	v_mul_f64 v[124:125], v[102:103], v[15:16]
	v_fma_f64 v[60:61], v[77:78], v[21:22], v[73:74]
	v_fma_f64 v[72:73], v[88:89], v[21:22], -v[120:121]
	v_mul_f64 v[88:89], v[92:93], v[15:16]
	v_mul_f64 v[15:16], v[94:95], v[15:16]
	v_fma_f64 v[8:9], v[9:10], 2.0, -v[17:18]
	v_fma_f64 v[50:51], v[50:51], 2.0, -v[54:55]
	v_fma_f64 v[10:11], v[11:12], 2.0, -v[27:28]
	v_fma_f64 v[77:78], v[92:93], v[13:14], v[118:119]
	v_fma_f64 v[79:80], v[79:80], v[21:22], v[122:123]
	v_fma_f64 v[74:75], v[90:91], v[21:22], -v[75:76]
	v_fma_f64 v[90:91], v[94:95], v[13:14], v[124:125]
	v_fma_f64 v[88:89], v[100:101], v[13:14], -v[88:89]
	s_waitcnt lgkmcnt(0)
	v_mul_f64 v[100:101], v[104:105], v[31:32]
	v_mul_f64 v[122:123], v[96:97], v[31:32]
	v_fma_f64 v[12:13], v[102:103], v[13:14], -v[15:16]
	v_mul_f64 v[14:15], v[58:59], v[23:24]
	v_mul_f64 v[23:24], v[25:26], v[23:24]
	;; [unrolled: 1-line block ×4, first 2 shown]
	v_add_f64 v[124:125], v[50:51], -v[10:11]
	v_add_f64 v[92:93], v[6:7], -v[116:117]
	ds_read_b64 v[94:95], v33
	ds_read_b64 v[116:117], v35
	ds_read_b64 v[118:119], v37
	ds_read_b64 v[120:121], v39
	v_fma_f64 v[10:11], v[96:97], v[29:30], v[100:101]
	v_fma_f64 v[96:97], v[104:105], v[29:30], -v[122:123]
	v_fma_f64 v[14:15], v[25:26], v[21:22], v[14:15]
	v_fma_f64 v[21:22], v[58:59], v[21:22], -v[23:24]
	;; [unrolled: 2-line block ×3, first 2 shown]
	v_fma_f64 v[30:31], v[50:51], 2.0, -v[124:125]
	s_waitcnt lgkmcnt(3)
	v_add_f64 v[50:51], v[94:95], -v[56:57]
	v_add_f64 v[58:59], v[52:53], -v[66:67]
	;; [unrolled: 1-line block ×5, first 2 shown]
	s_waitcnt lgkmcnt(2)
	v_add_f64 v[62:63], v[116:117], -v[72:73]
	v_add_f64 v[66:67], v[48:49], -v[70:71]
	;; [unrolled: 1-line block ×3, first 2 shown]
	v_fma_f64 v[72:73], v[94:95], 2.0, -v[50:51]
	v_fma_f64 v[52:53], v[52:53], 2.0, -v[58:59]
	;; [unrolled: 1-line block ×8, first 2 shown]
	v_add_f64 v[27:28], v[17:18], v[27:28]
	v_add_f64 v[100:101], v[72:73], -v[52:53]
	v_add_f64 v[52:53], v[19:20], v[58:59]
	v_add_f64 v[46:47], v[70:71], -v[46:47]
	v_add_f64 v[56:57], v[50:51], -v[56:57]
	;; [unrolled: 1-line block ×5, first 2 shown]
	v_fma_f64 v[16:17], v[17:18], 2.0, -v[27:28]
	v_add_f64 v[10:11], v[77:78], -v[10:11]
	v_fma_f64 v[18:19], v[19:20], 2.0, -v[52:53]
	v_add_f64 v[14:15], v[114:115], -v[14:15]
	s_waitcnt lgkmcnt(0)
	v_add_f64 v[20:21], v[120:121], -v[21:22]
	v_add_f64 v[22:23], v[90:91], -v[23:24]
	;; [unrolled: 1-line block ×3, first 2 shown]
	v_fma_f64 v[6:7], v[6:7], 2.0, -v[92:93]
	v_add_f64 v[74:75], v[118:119], -v[74:75]
	v_add_f64 v[96:97], v[88:89], -v[96:97]
	v_fma_f64 v[64:65], v[70:71], 2.0, -v[46:47]
	v_fma_f64 v[70:71], v[72:73], 2.0, -v[100:101]
	;; [unrolled: 1-line block ×11, first 2 shown]
	v_add_f64 v[6:7], v[8:9], -v[6:7]
	v_fma_f64 v[102:103], v[118:119], 2.0, -v[74:75]
	v_fma_f64 v[88:89], v[88:89], 2.0, -v[96:97]
	v_add_f64 v[92:93], v[54:55], -v[92:93]
	v_add_f64 v[68:69], v[60:61], v[68:69]
	v_add_f64 v[76:77], v[98:99], -v[76:77]
	v_add_f64 v[96:97], v[79:80], v[96:97]
	v_add_f64 v[108:109], v[74:75], -v[10:11]
	v_add_f64 v[10:11], v[104:105], -v[90:91]
	;; [unrolled: 1-line block ×3, first 2 shown]
	v_add_f64 v[12:13], v[14:15], v[24:25]
	v_add_f64 v[110:111], v[20:21], -v[22:23]
	v_fma_f64 v[8:9], v[8:9], 2.0, -v[6:7]
	v_add_f64 v[66:67], v[62:63], -v[66:67]
	v_add_f64 v[88:89], v[102:103], -v[88:89]
	v_fma_f64 v[54:55], v[54:55], 2.0, -v[92:93]
	v_fma_f64 v[60:61], v[60:61], 2.0, -v[68:69]
	;; [unrolled: 1-line block ×7, first 2 shown]
	v_and_or_b32 v20, v5, s0, v34
	v_lshl_add_u32 v32, v20, 3, 0
	s_movk_i32 s0, 0x3f0
	s_barrier
	ds_write2_b64 v32, v[8:9], v[16:17] offset1:4
	ds_write2_b64 v32, v[6:7], v[27:28] offset0:8 offset1:12
	v_and_or_b32 v6, v4, s0, v34
	s_movk_i32 s0, 0x5f0
	v_fma_f64 v[62:63], v[62:63], 2.0, -v[66:67]
	v_lshl_add_u32 v36, v6, 3, 0
	v_and_or_b32 v6, v3, s0, v34
	s_movk_i32 s0, 0x7f0
	v_lshl_add_u32 v38, v6, 3, 0
	v_and_or_b32 v6, v2, s0, v34
	s_movk_i32 s0, 0x9f0
	v_fma_f64 v[98:99], v[102:103], 2.0, -v[88:89]
	v_fma_f64 v[74:75], v[74:75], 2.0, -v[108:109]
	v_lshl_add_u32 v40, v6, 3, 0
	v_and_or_b32 v6, v1, s0, v34
	v_lshl_add_u32 v34, v6, 3, 0
	v_fma_f64 v[102:103], v[106:107], 2.0, -v[90:91]
	ds_write2_b64 v36, v[64:65], v[18:19] offset1:4
	ds_write2_b64 v36, v[46:47], v[52:53] offset0:8 offset1:12
	ds_write2_b64 v38, v[50:51], v[60:61] offset1:4
	ds_write2_b64 v38, v[48:49], v[68:69] offset0:8 offset1:12
	;; [unrolled: 2-line block ×4, first 2 shown]
	s_waitcnt lgkmcnt(0)
	s_barrier
	ds_read2st64_b64 v[6:9], v42 offset1:10
	ds_read2st64_b64 v[10:13], v42 offset0:20 offset1:22
	ds_read2st64_b64 v[14:17], v42 offset0:28 offset1:30
	;; [unrolled: 1-line block ×7, first 2 shown]
	ds_read_b64 v[78:79], v33
	ds_read_b64 v[112:113], v35
	;; [unrolled: 1-line block ×4, first 2 shown]
	s_waitcnt lgkmcnt(0)
	s_barrier
	ds_write2_b64 v32, v[30:31], v[54:55] offset1:4
	ds_write2_b64 v32, v[124:125], v[92:93] offset0:8 offset1:12
	ds_write2_b64 v36, v[70:71], v[72:73] offset1:4
	ds_write2_b64 v36, v[100:101], v[56:57] offset0:8 offset1:12
	;; [unrolled: 2-line block ×5, first 2 shown]
	v_and_b32_e32 v32, 15, v0
	v_mul_u32_u24_e32 v30, 3, v32
	v_lshlrev_b32_e32 v30, 4, v30
	s_waitcnt lgkmcnt(0)
	s_barrier
	global_load_dwordx4 v[54:57], v30, s[8:9] offset:192
	global_load_dwordx4 v[58:61], v30, s[8:9] offset:208
	;; [unrolled: 1-line block ×3, first 2 shown]
	ds_read2st64_b64 v[66:69], v42 offset1:10
	ds_read2st64_b64 v[70:73], v42 offset0:20 offset1:22
	ds_read2st64_b64 v[74:77], v42 offset0:28 offset1:30
	;; [unrolled: 1-line block ×7, first 2 shown]
	s_movk_i32 s0, 0x1c0
	v_and_or_b32 v5, v5, s0, v32
	s_movk_i32 s0, 0x3c0
	v_and_or_b32 v4, v4, s0, v32
	;; [unrolled: 2-line block ×4, first 2 shown]
	s_movk_i32 s0, 0x9c0
	v_lshl_add_u32 v34, v5, 3, 0
	v_and_or_b32 v1, v1, s0, v32
	v_lshl_add_u32 v36, v3, 3, 0
	v_lshl_add_u32 v38, v2, 3, 0
	;; [unrolled: 1-line block ×3, first 2 shown]
	s_mov_b32 s0, 0x134454ff
	s_mov_b32 s1, 0xbfee6f0e
	;; [unrolled: 1-line block ×3, first 2 shown]
	s_waitcnt vmcnt(2) lgkmcnt(7)
	v_mul_f64 v[30:31], v[68:69], v[56:57]
	v_mul_f64 v[108:109], v[8:9], v[56:57]
	s_waitcnt vmcnt(1)
	v_mul_f64 v[118:119], v[10:11], v[60:61]
	s_waitcnt lgkmcnt(6)
	v_mul_f64 v[110:111], v[70:71], v[60:61]
	s_waitcnt vmcnt(0) lgkmcnt(5)
	v_mul_f64 v[120:121], v[76:77], v[64:65]
	v_mul_f64 v[124:125], v[20:21], v[56:57]
	s_waitcnt lgkmcnt(3)
	v_mul_f64 v[122:123], v[92:93], v[64:65]
	v_fma_f64 v[8:9], v[8:9], v[54:55], v[30:31]
	v_fma_f64 v[30:31], v[68:69], v[54:55], -v[108:109]
	v_mul_f64 v[68:69], v[72:73], v[60:61]
	v_fma_f64 v[70:71], v[70:71], v[58:59], -v[118:119]
	v_mul_f64 v[108:109], v[12:13], v[60:61]
	v_mul_f64 v[118:119], v[88:89], v[56:57]
	v_fma_f64 v[10:11], v[10:11], v[58:59], v[110:111]
	v_fma_f64 v[110:111], v[16:17], v[62:63], v[120:121]
	v_mul_f64 v[16:17], v[16:17], v[64:65]
	v_mul_f64 v[120:121], v[90:91], v[56:57]
	v_fma_f64 v[12:13], v[12:13], v[58:59], v[68:69]
	v_mul_f64 v[68:69], v[18:19], v[56:57]
	v_fma_f64 v[72:73], v[72:73], v[58:59], -v[108:109]
	v_fma_f64 v[18:19], v[18:19], v[54:55], v[118:119]
	v_mul_f64 v[118:119], v[94:95], v[64:65]
	v_mul_f64 v[108:109], v[22:23], v[64:65]
	v_fma_f64 v[90:91], v[90:91], v[54:55], -v[124:125]
	v_fma_f64 v[20:21], v[20:21], v[54:55], v[120:121]
	v_mul_f64 v[120:121], v[26:27], v[60:61]
	v_fma_f64 v[68:69], v[88:89], v[54:55], -v[68:69]
	v_mul_f64 v[88:89], v[24:25], v[64:65]
	s_waitcnt lgkmcnt(2)
	v_mul_f64 v[124:125], v[102:103], v[56:57]
	v_fma_f64 v[24:25], v[24:25], v[62:63], v[118:119]
	v_mul_f64 v[118:119], v[100:101], v[56:57]
	v_fma_f64 v[16:17], v[76:77], v[62:63], -v[16:17]
	v_fma_f64 v[22:23], v[22:23], v[62:63], v[122:123]
	v_fma_f64 v[92:93], v[92:93], v[62:63], -v[108:109]
	s_waitcnt lgkmcnt(1)
	v_mul_f64 v[108:109], v[96:97], v[60:61]
	v_fma_f64 v[88:89], v[94:95], v[62:63], -v[88:89]
	v_mul_f64 v[94:95], v[28:29], v[60:61]
	v_mul_f64 v[122:123], v[98:99], v[60:61]
	v_fma_f64 v[76:77], v[96:97], v[58:59], -v[120:121]
	v_fma_f64 v[96:97], v[46:47], v[54:55], v[118:119]
	v_mul_f64 v[46:47], v[46:47], v[56:57]
	v_add_f64 v[16:17], v[30:31], -v[16:17]
	v_fma_f64 v[26:27], v[26:27], v[58:59], v[108:109]
	v_add_f64 v[12:13], v[78:79], -v[12:13]
	v_fma_f64 v[94:95], v[98:99], v[58:59], -v[94:95]
	v_fma_f64 v[98:99], v[48:49], v[54:55], v[124:125]
	v_mul_f64 v[48:49], v[48:49], v[56:57]
	v_add_f64 v[56:57], v[66:67], -v[70:71]
	v_fma_f64 v[28:29], v[28:29], v[58:59], v[122:123]
	v_fma_f64 v[30:31], v[30:31], 2.0, -v[16:17]
	v_fma_f64 v[46:47], v[100:101], v[54:55], -v[46:47]
	s_waitcnt lgkmcnt(0)
	v_mul_f64 v[100:101], v[104:105], v[64:65]
	v_mul_f64 v[122:123], v[50:51], v[64:65]
	v_add_f64 v[70:71], v[8:9], -v[110:111]
	v_fma_f64 v[48:49], v[102:103], v[54:55], -v[48:49]
	v_fma_f64 v[66:67], v[66:67], 2.0, -v[56:57]
	v_mul_f64 v[54:55], v[74:75], v[60:61]
	v_mul_f64 v[60:61], v[14:15], v[60:61]
	;; [unrolled: 1-line block ×4, first 2 shown]
	ds_read_b64 v[108:109], v33
	ds_read_b64 v[110:111], v35
	;; [unrolled: 1-line block ×4, first 2 shown]
	v_add_f64 v[22:23], v[18:19], -v[22:23]
	v_add_f64 v[26:27], v[112:113], -v[26:27]
	;; [unrolled: 1-line block ×3, first 2 shown]
	v_fma_f64 v[30:31], v[50:51], v[62:63], v[100:101]
	v_fma_f64 v[50:51], v[104:105], v[62:63], -v[122:123]
	v_fma_f64 v[14:15], v[14:15], v[58:59], v[54:55]
	v_fma_f64 v[54:55], v[74:75], v[58:59], -v[60:61]
	;; [unrolled: 2-line block ×3, first 2 shown]
	s_waitcnt lgkmcnt(3)
	v_add_f64 v[62:63], v[108:109], -v[72:73]
	v_fma_f64 v[60:61], v[66:67], 2.0, -v[124:125]
	v_add_f64 v[64:65], v[68:69], -v[92:93]
	s_waitcnt lgkmcnt(2)
	v_add_f64 v[66:67], v[110:111], -v[76:77]
	v_add_f64 v[24:25], v[20:21], -v[24:25]
	;; [unrolled: 1-line block ×3, first 2 shown]
	v_fma_f64 v[74:75], v[78:79], 2.0, -v[12:13]
	v_fma_f64 v[18:19], v[18:19], 2.0, -v[22:23]
	;; [unrolled: 1-line block ×8, first 2 shown]
	v_add_f64 v[10:11], v[6:7], -v[10:11]
	v_add_f64 v[18:19], v[74:75], -v[18:19]
	;; [unrolled: 1-line block ×9, first 2 shown]
	v_fma_f64 v[22:23], v[74:75], 2.0, -v[18:19]
	s_waitcnt lgkmcnt(0)
	v_add_f64 v[54:55], v[120:121], -v[54:55]
	v_add_f64 v[52:53], v[98:99], -v[52:53]
	v_fma_f64 v[74:75], v[76:77], 2.0, -v[68:69]
	v_add_f64 v[58:59], v[48:49], -v[58:59]
	v_fma_f64 v[76:77], v[78:79], 2.0, -v[20:21]
	v_fma_f64 v[78:79], v[88:89], 2.0, -v[90:91]
	v_add_f64 v[88:89], v[66:67], -v[24:25]
	v_add_f64 v[24:25], v[114:115], -v[28:29]
	;; [unrolled: 1-line block ×3, first 2 shown]
	v_fma_f64 v[6:7], v[6:7], 2.0, -v[10:11]
	v_fma_f64 v[8:9], v[8:9], 2.0, -v[70:71]
	;; [unrolled: 1-line block ×10, first 2 shown]
	v_add_f64 v[8:9], v[6:7], -v[8:9]
	v_add_f64 v[16:17], v[10:11], v[16:17]
	v_add_f64 v[70:71], v[56:57], -v[70:71]
	v_add_f64 v[64:65], v[12:13], v[64:65]
	v_add_f64 v[72:73], v[26:27], v[72:73]
	v_add_f64 v[96:97], v[94:95], -v[96:97]
	v_add_f64 v[106:107], v[100:101], -v[46:47]
	v_add_f64 v[46:47], v[24:25], v[50:51]
	v_add_f64 v[50:51], v[28:29], -v[30:31]
	v_add_f64 v[30:31], v[102:103], -v[98:99]
	v_add_f64 v[98:99], v[104:105], -v[48:49]
	v_add_f64 v[48:49], v[14:15], v[58:59]
	v_fma_f64 v[6:7], v[6:7], 2.0, -v[8:9]
	v_fma_f64 v[10:11], v[10:11], 2.0, -v[16:17]
	;; [unrolled: 1-line block ×5, first 2 shown]
	v_add_f64 v[52:53], v[54:55], -v[52:53]
	v_fma_f64 v[58:59], v[94:95], 2.0, -v[96:97]
	v_fma_f64 v[94:95], v[100:101], 2.0, -v[106:107]
	;; [unrolled: 1-line block ×8, first 2 shown]
	s_barrier
	ds_write2_b64 v34, v[6:7], v[10:11] offset1:16
	ds_write2_b64 v34, v[8:9], v[16:17] offset0:32 offset1:48
	v_lshl_add_u32 v11, v4, 3, 0
	v_fma_f64 v[102:103], v[104:105], 2.0, -v[98:99]
	v_fma_f64 v[54:55], v[54:55], 2.0, -v[52:53]
	ds_write2_b64 v11, v[22:23], v[12:13] offset1:16
	ds_write2_b64 v11, v[18:19], v[64:65] offset0:32 offset1:48
	ds_write2_b64 v36, v[76:77], v[26:27] offset1:16
	ds_write2_b64 v36, v[20:21], v[72:73] offset0:32 offset1:48
	;; [unrolled: 2-line block ×4, first 2 shown]
	s_waitcnt lgkmcnt(0)
	s_barrier
	ds_read2st64_b64 v[12:15], v42 offset1:6
	ds_read2st64_b64 v[3:6], v42 offset0:10 offset1:12
	ds_read2st64_b64 v[7:10], v42 offset0:14 offset1:16
	;; [unrolled: 1-line block ×7, first 2 shown]
	ds_read_b64 v[112:113], v39
	ds_read_b64 v[116:117], v35
	;; [unrolled: 1-line block ×3, first 2 shown]
	ds_read_b64 v[118:119], v42 offset:19456
	s_waitcnt lgkmcnt(0)
	s_barrier
	ds_write2_b64 v34, v[60:61], v[56:57] offset1:16
	ds_write2_b64 v34, v[124:125], v[70:71] offset0:32 offset1:48
	ds_write2_b64 v11, v[74:75], v[62:63] offset1:16
	ds_write2_b64 v11, v[68:69], v[92:93] offset0:32 offset1:48
	;; [unrolled: 2-line block ×5, first 2 shown]
	v_and_b32_e32 v11, 63, v0
	v_mul_u32_u24_e32 v32, 9, v11
	v_lshlrev_b32_e32 v32, 4, v32
	s_waitcnt lgkmcnt(0)
	s_barrier
	global_load_dwordx4 v[50:53], v32, s[8:9] offset:976
	global_load_dwordx4 v[54:57], v32, s[8:9] offset:992
	;; [unrolled: 1-line block ×9, first 2 shown]
	ds_read_b64 v[78:79], v39
	ds_read2st64_b64 v[96:99], v42 offset0:10 offset1:12
	ds_read2st64_b64 v[100:103], v42 offset1:6
	ds_read_b64 v[120:121], v35
	ds_read2st64_b64 v[104:107], v42 offset0:14 offset1:16
	ds_read2st64_b64 v[108:111], v42 offset0:18 offset1:20
	s_waitcnt vmcnt(8)
	v_mul_f64 v[122:123], v[112:113], v[52:53]
	s_waitcnt vmcnt(7) lgkmcnt(4)
	v_mul_f64 v[124:125], v[98:99], v[56:57]
	v_mul_f64 v[126:127], v[96:97], v[52:53]
	;; [unrolled: 1-line block ×5, first 2 shown]
	v_fma_f64 v[78:79], v[78:79], v[50:51], -v[122:123]
	v_fma_f64 v[122:123], v[5:6], v[54:55], v[124:125]
	s_waitcnt vmcnt(6) lgkmcnt(1)
	v_mul_f64 v[5:6], v[106:107], v[60:61]
	v_fma_f64 v[124:125], v[3:4], v[50:51], v[126:127]
	v_mul_f64 v[3:4], v[104:105], v[56:57]
	v_mul_f64 v[56:57], v[7:8], v[56:57]
	v_fma_f64 v[98:99], v[98:99], v[54:55], -v[128:129]
	v_mul_f64 v[126:127], v[9:10], v[60:61]
	v_fma_f64 v[130:131], v[112:113], v[50:51], v[114:115]
	ds_read2st64_b64 v[112:115], v42 offset0:22 offset1:24
	v_fma_f64 v[128:129], v[9:10], v[58:59], v[5:6]
	s_waitcnt vmcnt(5) lgkmcnt(1)
	v_mul_f64 v[9:10], v[110:111], v[64:65]
	v_fma_f64 v[5:6], v[7:8], v[54:55], v[3:4]
	v_mul_f64 v[7:8], v[108:109], v[60:61]
	v_fma_f64 v[3:4], v[104:105], v[54:55], -v[56:57]
	v_mul_f64 v[54:55], v[16:17], v[60:61]
	v_fma_f64 v[60:61], v[106:107], v[58:59], -v[126:127]
	v_fma_f64 v[96:97], v[96:97], v[50:51], -v[52:53]
	ds_read2st64_b64 v[50:53], v42 offset0:26 offset1:28
	v_fma_f64 v[104:105], v[18:19], v[62:63], v[9:10]
	s_waitcnt vmcnt(4) lgkmcnt(1)
	v_mul_f64 v[9:10], v[114:115], v[68:69]
	v_fma_f64 v[106:107], v[16:17], v[58:59], v[7:8]
	v_mul_f64 v[7:8], v[112:113], v[64:65]
	v_mul_f64 v[56:57], v[18:19], v[64:65]
	v_fma_f64 v[58:59], v[108:109], v[58:59], -v[54:55]
	v_mul_f64 v[108:109], v[22:23], v[68:69]
	v_mul_f64 v[64:65], v[20:21], v[64:65]
	s_waitcnt lgkmcnt(0)
	v_mul_f64 v[126:127], v[50:51], v[68:69]
	v_fma_f64 v[22:23], v[22:23], v[66:67], v[9:10]
	ds_read2st64_b64 v[16:19], v42 offset0:30 offset1:32
	v_fma_f64 v[9:10], v[20:21], v[62:63], v[7:8]
	s_waitcnt vmcnt(3)
	v_mul_f64 v[20:21], v[52:53], v[72:73]
	v_fma_f64 v[110:111], v[110:111], v[62:63], -v[56:57]
	ds_read2st64_b64 v[54:57], v42 offset0:34 offset1:36
	v_fma_f64 v[7:8], v[112:113], v[62:63], -v[64:65]
	v_mul_f64 v[62:63], v[24:25], v[68:69]
	s_waitcnt vmcnt(2)
	v_mul_f64 v[68:69], v[120:121], v[76:77]
	v_fma_f64 v[108:109], v[114:115], v[66:67], -v[108:109]
	v_mul_f64 v[112:113], v[116:117], v[76:77]
	v_fma_f64 v[20:21], v[26:27], v[70:71], v[20:21]
	v_mul_f64 v[26:27], v[26:27], v[72:73]
	s_waitcnt vmcnt(1) lgkmcnt(1)
	v_mul_f64 v[114:115], v[18:19], v[90:91]
	ds_read_b64 v[64:65], v33
	v_fma_f64 v[50:51], v[50:51], v[66:67], -v[62:63]
	v_mul_f64 v[62:63], v[30:31], v[90:91]
	v_fma_f64 v[68:69], v[116:117], v[74:75], v[68:69]
	v_mul_f64 v[116:117], v[16:17], v[72:73]
	v_mul_f64 v[72:73], v[28:29], v[72:73]
	v_fma_f64 v[26:27], v[52:53], v[70:71], -v[26:27]
	s_waitcnt vmcnt(0) lgkmcnt(1)
	v_mul_f64 v[52:53], v[56:57], v[94:95]
	v_fma_f64 v[30:31], v[30:31], v[88:89], v[114:115]
	v_mul_f64 v[114:115], v[102:103], v[76:77]
	v_fma_f64 v[18:19], v[18:19], v[88:89], -v[62:63]
	v_mul_f64 v[62:63], v[48:49], v[94:95]
	v_fma_f64 v[28:29], v[28:29], v[70:71], v[116:117]
	v_fma_f64 v[16:17], v[16:17], v[70:71], -v[72:73]
	v_add_f64 v[70:71], v[12:13], v[130:131]
	v_mul_f64 v[72:73], v[14:15], v[76:77]
	v_add_f64 v[76:77], v[128:129], v[22:23]
	v_fma_f64 v[48:49], v[48:49], v[92:93], v[52:53]
	v_mul_f64 v[52:53], v[54:55], v[90:91]
	v_mul_f64 v[90:91], v[46:47], v[90:91]
	v_fma_f64 v[24:25], v[24:25], v[66:67], v[126:127]
	ds_read_b64 v[66:67], v42 offset:19456
	v_fma_f64 v[112:113], v[120:121], v[74:75], -v[112:113]
	v_fma_f64 v[56:57], v[56:57], v[92:93], -v[62:63]
	v_fma_f64 v[14:15], v[14:15], v[74:75], v[114:115]
	v_add_f64 v[62:63], v[70:71], v[128:129]
	v_fma_f64 v[70:71], v[102:103], v[74:75], -v[72:73]
	v_fma_f64 v[72:73], v[76:77], -0.5, v[12:13]
	v_add_f64 v[74:75], v[78:79], -v[18:19]
	v_fma_f64 v[46:47], v[46:47], v[88:89], v[52:53]
	v_fma_f64 v[52:53], v[54:55], v[88:89], -v[90:91]
	s_waitcnt lgkmcnt(0)
	v_mul_f64 v[54:55], v[66:67], v[94:95]
	v_mul_f64 v[76:77], v[118:119], v[94:95]
	v_add_f64 v[102:103], v[130:131], v[30:31]
	v_add_f64 v[90:91], v[60:61], -v[108:109]
	v_add_f64 v[94:95], v[130:131], -v[128:129]
	v_fma_f64 v[88:89], v[74:75], s[0:1], v[72:73]
	v_add_f64 v[114:115], v[30:31], -v[22:23]
	v_add_f64 v[62:63], v[62:63], v[22:23]
	v_fma_f64 v[54:55], v[118:119], v[92:93], v[54:55]
	v_fma_f64 v[66:67], v[66:67], v[92:93], -v[76:77]
	v_fma_f64 v[12:13], v[102:103], -0.5, v[12:13]
	v_add_f64 v[92:93], v[100:101], v[78:79]
	v_fma_f64 v[72:73], v[74:75], s[4:5], v[72:73]
	v_fma_f64 v[76:77], v[90:91], s[10:11], v[88:89]
	v_add_f64 v[88:89], v[94:95], v[114:115]
	v_add_f64 v[102:103], v[128:129], -v[130:131]
	v_add_f64 v[114:115], v[22:23], -v[30:31]
	v_add_f64 v[116:117], v[60:61], v[108:109]
	v_fma_f64 v[94:95], v[90:91], s[4:5], v[12:13]
	v_fma_f64 v[12:13], v[90:91], s[0:1], v[12:13]
	v_add_f64 v[92:93], v[92:93], v[60:61]
	v_add_f64 v[62:63], v[62:63], v[30:31]
	v_fma_f64 v[72:73], v[90:91], s[12:13], v[72:73]
	v_add_f64 v[30:31], v[130:131], -v[30:31]
	v_fma_f64 v[76:77], v[88:89], s[6:7], v[76:77]
	v_add_f64 v[22:23], v[128:129], -v[22:23]
	v_fma_f64 v[90:91], v[74:75], s[10:11], v[94:95]
	v_add_f64 v[94:95], v[102:103], v[114:115]
	v_fma_f64 v[12:13], v[74:75], s[12:13], v[12:13]
	v_add_f64 v[74:75], v[78:79], v[18:19]
	v_add_f64 v[92:93], v[92:93], v[108:109]
	v_fma_f64 v[102:103], v[116:117], -0.5, v[100:101]
	v_fma_f64 v[72:73], v[88:89], s[6:7], v[72:73]
	v_add_f64 v[114:115], v[18:19], -v[108:109]
	v_add_f64 v[118:119], v[48:49], -v[20:21]
	v_fma_f64 v[88:89], v[94:95], s[6:7], v[90:91]
	v_fma_f64 v[12:13], v[94:95], s[6:7], v[12:13]
	v_fma_f64 v[74:75], v[74:75], -0.5, v[100:101]
	v_add_f64 v[90:91], v[92:93], v[18:19]
	v_fma_f64 v[92:93], v[30:31], s[4:5], v[102:103]
	v_fma_f64 v[102:103], v[30:31], s[0:1], v[102:103]
	v_add_f64 v[100:101], v[78:79], -v[60:61]
	v_add_f64 v[60:61], v[60:61], -v[78:79]
	;; [unrolled: 1-line block ×3, first 2 shown]
	v_add_f64 v[78:79], v[68:69], v[122:123]
	v_fma_f64 v[116:117], v[22:23], s[0:1], v[74:75]
	v_add_f64 v[94:95], v[104:105], v[20:21]
	v_fma_f64 v[92:93], v[22:23], s[12:13], v[92:93]
	v_fma_f64 v[102:103], v[22:23], s[10:11], v[102:103]
	;; [unrolled: 1-line block ×3, first 2 shown]
	v_add_f64 v[100:101], v[100:101], v[114:115]
	v_add_f64 v[18:19], v[60:61], v[18:19]
	;; [unrolled: 1-line block ×3, first 2 shown]
	v_fma_f64 v[74:75], v[30:31], s[12:13], v[116:117]
	v_add_f64 v[116:117], v[122:123], -v[104:105]
	v_fma_f64 v[94:95], v[94:95], -0.5, v[68:69]
	v_add_f64 v[108:109], v[98:99], -v[56:57]
	v_fma_f64 v[22:23], v[30:31], s[10:11], v[22:23]
	v_fma_f64 v[30:31], v[100:101], s[6:7], v[92:93]
	;; [unrolled: 1-line block ×3, first 2 shown]
	v_add_f64 v[100:101], v[110:111], v[26:27]
	v_fma_f64 v[74:75], v[18:19], s[6:7], v[74:75]
	v_add_f64 v[60:61], v[60:61], v[20:21]
	v_add_f64 v[102:103], v[116:117], v[118:119]
	;; [unrolled: 1-line block ×3, first 2 shown]
	v_fma_f64 v[18:19], v[18:19], s[6:7], v[22:23]
	v_add_f64 v[22:23], v[98:99], v[56:57]
	v_add_f64 v[118:119], v[122:123], -v[48:49]
	v_fma_f64 v[100:101], v[100:101], -0.5, v[112:113]
	v_add_f64 v[120:121], v[104:105], -v[20:21]
	v_fma_f64 v[78:79], v[108:109], s[0:1], v[94:95]
	v_add_f64 v[114:115], v[110:111], -v[26:27]
	v_fma_f64 v[94:95], v[108:109], s[4:5], v[94:95]
	v_add_f64 v[60:61], v[60:61], v[48:49]
	v_fma_f64 v[22:23], v[22:23], -0.5, v[112:113]
	v_fma_f64 v[68:69], v[116:117], -0.5, v[68:69]
	v_add_f64 v[104:105], v[104:105], -v[122:123]
	v_add_f64 v[20:21], v[20:21], -v[48:49]
	v_fma_f64 v[48:49], v[118:119], s[4:5], v[100:101]
	v_add_f64 v[116:117], v[98:99], -v[110:111]
	v_add_f64 v[122:123], v[56:57], -v[26:27]
	;; [unrolled: 1-line block ×3, first 2 shown]
	v_fma_f64 v[126:127], v[120:121], s[0:1], v[22:23]
	v_add_f64 v[130:131], v[26:27], -v[56:57]
	v_add_f64 v[98:99], v[112:113], v[98:99]
	v_fma_f64 v[78:79], v[114:115], s[10:11], v[78:79]
	v_fma_f64 v[94:95], v[114:115], s[12:13], v[94:95]
	;; [unrolled: 1-line block ×6, first 2 shown]
	v_add_f64 v[114:115], v[116:117], v[122:123]
	v_fma_f64 v[116:117], v[118:119], s[12:13], v[126:127]
	v_add_f64 v[122:123], v[128:129], v[130:131]
	v_add_f64 v[98:99], v[98:99], v[110:111]
	v_fma_f64 v[100:101], v[118:119], s[0:1], v[100:101]
	v_fma_f64 v[110:111], v[108:109], s[10:11], v[112:113]
	v_fma_f64 v[22:23], v[118:119], s[10:11], v[22:23]
	v_add_f64 v[20:21], v[104:105], v[20:21]
	v_fma_f64 v[68:69], v[108:109], s[12:13], v[68:69]
	v_fma_f64 v[48:49], v[114:115], s[6:7], v[48:49]
	v_fma_f64 v[104:105], v[122:123], s[6:7], v[116:117]
	v_add_f64 v[26:27], v[98:99], v[26:27]
	v_fma_f64 v[98:99], v[120:121], s[10:11], v[100:101]
	v_fma_f64 v[78:79], v[102:103], s[6:7], v[78:79]
	v_fma_f64 v[94:95], v[102:103], s[6:7], v[94:95]
	v_fma_f64 v[22:23], v[122:123], s[6:7], v[22:23]
	v_fma_f64 v[100:101], v[20:21], s[6:7], v[110:111]
	;; [unrolled: 1-line block ×3, first 2 shown]
	v_mul_f64 v[68:69], v[48:49], s[10:11]
	v_mul_f64 v[102:103], v[104:105], s[0:1]
	v_add_f64 v[26:27], v[26:27], v[56:57]
	v_fma_f64 v[56:57], v[114:115], s[6:7], v[98:99]
	v_mul_f64 v[48:49], v[48:49], s[18:19]
	v_mul_f64 v[104:105], v[104:105], s[6:7]
	v_mul_f64 v[108:109], v[22:23], s[0:1]
	v_mul_f64 v[22:23], v[22:23], s[14:15]
	v_fma_f64 v[68:69], v[78:79], s[18:19], v[68:69]
	v_fma_f64 v[102:103], v[100:101], s[6:7], v[102:103]
	v_add_f64 v[98:99], v[62:63], v[60:61]
	v_mul_f64 v[110:111], v[56:57], s[10:11]
	v_mul_f64 v[56:57], v[56:57], s[16:17]
	v_fma_f64 v[48:49], v[78:79], s[12:13], v[48:49]
	v_fma_f64 v[78:79], v[100:101], s[4:5], v[104:105]
	v_add_f64 v[100:101], v[1:2], v[124:125]
	v_add_f64 v[104:105], v[106:107], v[24:25]
	v_fma_f64 v[108:109], v[20:21], s[14:15], v[108:109]
	v_add_f64 v[112:113], v[76:77], v[68:69]
	v_fma_f64 v[110:111], v[94:95], s[16:17], v[110:111]
	v_fma_f64 v[20:21], v[20:21], s[4:5], v[22:23]
	;; [unrolled: 1-line block ×3, first 2 shown]
	v_add_f64 v[94:95], v[90:91], v[26:27]
	v_add_f64 v[60:61], v[62:63], -v[60:61]
	v_add_f64 v[62:63], v[76:77], -v[68:69]
	v_add_f64 v[68:69], v[100:101], v[106:107]
	v_fma_f64 v[76:77], v[104:105], -0.5, v[1:2]
	v_add_f64 v[100:101], v[96:97], -v[52:53]
	v_add_f64 v[90:91], v[90:91], -v[26:27]
	v_add_f64 v[26:27], v[124:125], v[46:47]
	v_add_f64 v[114:115], v[88:89], v[102:103]
	;; [unrolled: 1-line block ×3, first 2 shown]
	v_add_f64 v[88:89], v[88:89], -v[102:103]
	v_add_f64 v[48:49], v[30:31], -v[48:49]
	v_add_f64 v[30:31], v[68:69], v[24:25]
	v_fma_f64 v[68:69], v[100:101], s[0:1], v[76:77]
	v_add_f64 v[102:103], v[58:59], -v[50:51]
	v_fma_f64 v[1:2], v[26:27], -0.5, v[1:2]
	v_add_f64 v[116:117], v[12:13], v[108:109]
	v_add_f64 v[120:121], v[74:75], v[78:79]
	;; [unrolled: 1-line block ×4, first 2 shown]
	v_add_f64 v[12:13], v[12:13], -v[108:109]
	v_add_f64 v[74:75], v[74:75], -v[78:79]
	;; [unrolled: 1-line block ×6, first 2 shown]
	v_fma_f64 v[20:21], v[102:103], s[10:11], v[68:69]
	v_add_f64 v[22:23], v[64:65], v[96:97]
	v_add_f64 v[26:27], v[58:59], v[50:51]
	v_fma_f64 v[68:69], v[100:101], s[4:5], v[76:77]
	v_fma_f64 v[76:77], v[102:103], s[4:5], v[1:2]
	;; [unrolled: 1-line block ×3, first 2 shown]
	v_add_f64 v[18:19], v[30:31], v[46:47]
	v_add_f64 v[30:31], v[78:79], v[104:105]
	v_add_f64 v[78:79], v[106:107], -v[124:125]
	v_add_f64 v[104:105], v[24:25], -v[46:47]
	v_add_f64 v[22:23], v[22:23], v[58:59]
	v_fma_f64 v[26:27], v[26:27], -0.5, v[64:65]
	v_add_f64 v[46:47], v[124:125], -v[46:47]
	v_fma_f64 v[68:69], v[102:103], s[12:13], v[68:69]
	v_fma_f64 v[76:77], v[100:101], s[10:11], v[76:77]
	;; [unrolled: 1-line block ×3, first 2 shown]
	v_add_f64 v[100:101], v[96:97], v[52:53]
	v_fma_f64 v[20:21], v[30:31], s[6:7], v[20:21]
	v_add_f64 v[78:79], v[78:79], v[104:105]
	v_add_f64 v[22:23], v[22:23], v[50:51]
	v_fma_f64 v[102:103], v[46:47], s[4:5], v[26:27]
	v_add_f64 v[24:25], v[106:107], -v[24:25]
	v_fma_f64 v[30:31], v[30:31], s[6:7], v[68:69]
	v_add_f64 v[68:69], v[96:97], -v[58:59]
	v_add_f64 v[104:105], v[52:53], -v[50:51]
	v_fma_f64 v[64:65], v[100:101], -0.5, v[64:65]
	v_fma_f64 v[26:27], v[46:47], s[0:1], v[26:27]
	v_fma_f64 v[76:77], v[78:79], s[6:7], v[76:77]
	;; [unrolled: 1-line block ×3, first 2 shown]
	v_add_f64 v[22:23], v[22:23], v[52:53]
	v_fma_f64 v[78:79], v[24:25], s[12:13], v[102:103]
	v_add_f64 v[100:101], v[14:15], v[5:6]
	v_add_f64 v[102:103], v[9:10], v[28:29]
	;; [unrolled: 1-line block ×3, first 2 shown]
	v_fma_f64 v[104:105], v[24:25], s[0:1], v[64:65]
	v_add_f64 v[50:51], v[50:51], -v[52:53]
	v_fma_f64 v[52:53], v[24:25], s[4:5], v[64:65]
	v_fma_f64 v[24:25], v[24:25], s[10:11], v[26:27]
	v_add_f64 v[58:59], v[58:59], -v[96:97]
	v_add_f64 v[64:65], v[100:101], v[9:10]
	v_fma_f64 v[96:97], v[102:103], -0.5, v[14:15]
	v_add_f64 v[100:101], v[3:4], -v[66:67]
	v_fma_f64 v[26:27], v[46:47], s[12:13], v[104:105]
	v_fma_f64 v[78:79], v[68:69], s[6:7], v[78:79]
	;; [unrolled: 1-line block ×3, first 2 shown]
	v_add_f64 v[52:53], v[5:6], v[54:55]
	v_fma_f64 v[24:25], v[68:69], s[6:7], v[24:25]
	v_add_f64 v[68:69], v[3:4], v[66:67]
	v_add_f64 v[50:51], v[58:59], v[50:51]
	;; [unrolled: 1-line block ×3, first 2 shown]
	v_fma_f64 v[64:65], v[100:101], s[0:1], v[96:97]
	v_add_f64 v[102:103], v[7:8], -v[16:17]
	v_add_f64 v[104:105], v[5:6], -v[9:10]
	;; [unrolled: 1-line block ×3, first 2 shown]
	v_fma_f64 v[14:15], v[52:53], -0.5, v[14:15]
	v_add_f64 v[52:53], v[7:8], v[16:17]
	v_add_f64 v[56:57], v[72:73], v[110:111]
	v_add_f64 v[72:73], v[72:73], -v[110:111]
	v_add_f64 v[110:111], v[9:10], -v[28:29]
	;; [unrolled: 1-line block ×4, first 2 shown]
	v_fma_f64 v[68:69], v[68:69], -0.5, v[70:71]
	v_fma_f64 v[26:27], v[50:51], s[6:7], v[26:27]
	v_fma_f64 v[46:47], v[50:51], s[6:7], v[46:47]
	v_add_f64 v[50:51], v[58:59], v[54:55]
	v_fma_f64 v[58:59], v[102:103], s[10:11], v[64:65]
	v_add_f64 v[64:65], v[104:105], v[106:107]
	v_fma_f64 v[52:53], v[52:53], -0.5, v[70:71]
	v_add_f64 v[106:107], v[5:6], -v[54:55]
	v_add_f64 v[70:71], v[70:71], v[3:4]
	v_add_f64 v[124:125], v[124:125], v[128:129]
	v_fma_f64 v[128:129], v[110:111], s[0:1], v[68:69]
	v_add_f64 v[3:4], v[7:8], -v[3:4]
	v_add_f64 v[130:131], v[16:17], -v[66:67]
	v_fma_f64 v[68:69], v[110:111], s[4:5], v[68:69]
	v_add_f64 v[5:6], v[9:10], -v[5:6]
	v_fma_f64 v[9:10], v[106:107], s[4:5], v[52:53]
	v_fma_f64 v[52:53], v[106:107], s[0:1], v[52:53]
	;; [unrolled: 1-line block ×4, first 2 shown]
	v_add_f64 v[28:29], v[28:29], -v[54:55]
	v_fma_f64 v[14:15], v[102:103], s[0:1], v[14:15]
	v_fma_f64 v[54:55], v[106:107], s[12:13], v[128:129]
	v_add_f64 v[3:4], v[3:4], v[130:131]
	v_fma_f64 v[68:69], v[106:107], s[10:11], v[68:69]
	v_fma_f64 v[9:10], v[110:111], s[12:13], v[9:10]
	v_add_f64 v[7:8], v[70:71], v[7:8]
	v_fma_f64 v[52:53], v[110:111], s[10:11], v[52:53]
	v_fma_f64 v[96:97], v[102:103], s[12:13], v[96:97]
	;; [unrolled: 1-line block ×3, first 2 shown]
	v_add_f64 v[5:6], v[5:6], v[28:29]
	v_fma_f64 v[14:15], v[100:101], s[12:13], v[14:15]
	v_fma_f64 v[28:29], v[3:4], s[6:7], v[54:55]
	;; [unrolled: 1-line block ×4, first 2 shown]
	v_add_f64 v[7:8], v[7:8], v[16:17]
	v_fma_f64 v[52:53], v[124:125], s[6:7], v[52:53]
	v_fma_f64 v[58:59], v[64:65], s[6:7], v[58:59]
	;; [unrolled: 1-line block ×5, first 2 shown]
	v_mul_f64 v[68:69], v[3:4], s[0:1]
	v_mul_f64 v[3:4], v[3:4], s[14:15]
	;; [unrolled: 1-line block ×3, first 2 shown]
	v_add_f64 v[7:8], v[7:8], v[66:67]
	v_mul_f64 v[66:67], v[28:29], s[0:1]
	v_mul_f64 v[70:71], v[52:53], s[10:11]
	;; [unrolled: 1-line block ×5, first 2 shown]
	v_fma_f64 v[3:4], v[5:6], s[4:5], v[3:4]
	v_fma_f64 v[54:55], v[58:59], s[18:19], v[54:55]
	;; [unrolled: 1-line block ×5, first 2 shown]
	v_add_f64 v[14:15], v[18:19], v[50:51]
	v_fma_f64 v[9:10], v[58:59], s[12:13], v[9:10]
	v_fma_f64 v[28:29], v[64:65], s[4:5], v[28:29]
	v_add_f64 v[104:105], v[46:47], v[3:4]
	v_add_f64 v[46:47], v[46:47], -v[3:4]
	v_lshrrev_b32_e32 v3, 6, v0
	v_mul_u32_u24_e32 v3, 0x280, v3
	v_add_f64 v[96:97], v[20:21], v[54:55]
	v_fma_f64 v[5:6], v[16:17], s[12:13], v[52:53]
	v_or_b32_e32 v3, v3, v11
	v_add_f64 v[16:17], v[76:77], v[66:67]
	v_add_f64 v[52:53], v[1:2], v[68:69]
	v_add_f64 v[18:19], v[18:19], -v[50:51]
	v_add_f64 v[50:51], v[76:77], -v[66:67]
	s_movk_i32 s0, 0x280
	v_lshl_add_u32 v76, v3, 3, 0
	v_lshrrev_b32_e32 v3, 6, v84
	v_add_f64 v[58:59], v[30:31], v[70:71]
	v_mul_lo_u32 v3, v3, s0
	v_add_f64 v[20:21], v[20:21], -v[54:55]
	v_add_f64 v[1:2], v[1:2], -v[68:69]
	;; [unrolled: 1-line block ×3, first 2 shown]
	v_or_b32_e32 v3, v3, v11
	s_barrier
	ds_write2st64_b64 v76, v[98:99], v[112:113] offset1:1
	ds_write2st64_b64 v76, v[114:115], v[116:117] offset0:2 offset1:3
	ds_write2st64_b64 v76, v[56:57], v[60:61] offset0:4 offset1:5
	;; [unrolled: 1-line block ×4, first 2 shown]
	v_lshl_add_u32 v56, v3, 3, 0
	v_add_f64 v[64:65], v[22:23], v[7:8]
	v_add_f64 v[100:101], v[78:79], v[9:10]
	v_add_f64 v[102:103], v[26:27], v[28:29]
	v_add_f64 v[106:107], v[24:25], v[5:6]
	v_add_f64 v[54:55], v[22:23], -v[7:8]
	v_add_f64 v[66:67], v[78:79], -v[9:10]
	;; [unrolled: 1-line block ×4, first 2 shown]
	ds_write2st64_b64 v56, v[14:15], v[96:97] offset1:1
	ds_write2st64_b64 v56, v[16:17], v[52:53] offset0:2 offset1:3
	ds_write2st64_b64 v56, v[58:59], v[18:19] offset0:4 offset1:5
	;; [unrolled: 1-line block ×4, first 2 shown]
	s_waitcnt lgkmcnt(0)
	s_barrier
	ds_read2st64_b64 v[1:4], v42 offset1:10
	ds_read2st64_b64 v[5:8], v42 offset0:20 offset1:22
	ds_read2st64_b64 v[9:12], v42 offset0:28 offset1:30
	;; [unrolled: 1-line block ×7, first 2 shown]
	ds_read_b64 v[33:34], v33
	ds_read_b64 v[35:36], v35
	;; [unrolled: 1-line block ×4, first 2 shown]
	s_waitcnt lgkmcnt(0)
	s_barrier
	ds_write2st64_b64 v76, v[94:95], v[118:119] offset1:1
	ds_write2st64_b64 v76, v[120:121], v[122:123] offset0:2 offset1:3
	ds_write2st64_b64 v76, v[126:127], v[90:91] offset0:4 offset1:5
	;; [unrolled: 1-line block ×4, first 2 shown]
	ds_write2st64_b64 v56, v[64:65], v[100:101] offset1:1
	ds_write2st64_b64 v56, v[102:103], v[104:105] offset0:2 offset1:3
	ds_write2st64_b64 v56, v[106:107], v[54:55] offset0:4 offset1:5
	;; [unrolled: 1-line block ×4, first 2 shown]
	s_waitcnt lgkmcnt(0)
	s_barrier
	s_and_saveexec_b64 s[0:1], vcc
	s_cbranch_execz .LBB0_15
; %bb.14:
	v_mul_i32_i24_e32 v78, 3, v87
	v_mov_b32_e32 v79, 0
	v_lshlrev_b64 v[46:47], 4, v[78:79]
	v_mov_b32_e32 v80, s9
	v_add_co_u32_e32 v46, vcc, s8, v46
	v_addc_co_u32_e32 v57, vcc, v80, v47, vcc
	v_add_co_u32_e32 v54, vcc, 0x27c0, v46
	v_addc_co_u32_e32 v55, vcc, 0, v57, vcc
	;; [unrolled: 2-line block ×3, first 2 shown]
	global_load_dwordx4 v[46:49], v[54:55], off offset:32
	global_load_dwordx4 v[50:53], v[54:55], off offset:16
	v_mul_i32_i24_e32 v78, 3, v86
	global_load_dwordx4 v[54:57], v[56:57], off offset:1984
	v_lshlrev_b64 v[58:59], 4, v[78:79]
	s_movk_i32 s0, 0x2000
	v_add_co_u32_e32 v62, vcc, s8, v58
	v_addc_co_u32_e32 v63, vcc, v80, v59, vcc
	v_add_co_u32_e32 v58, vcc, s0, v62
	v_addc_co_u32_e32 v59, vcc, 0, v63, vcc
	global_load_dwordx4 v[58:61], v[58:59], off offset:1984
	s_movk_i32 s1, 0x27c0
	v_add_co_u32_e32 v74, vcc, s1, v62
	v_addc_co_u32_e32 v75, vcc, 0, v63, vcc
	global_load_dwordx4 v[62:65], v[74:75], off offset:32
	v_mul_i32_i24_e32 v78, 3, v85
	v_lshlrev_b64 v[76:77], 4, v[78:79]
	ds_read2st64_b64 v[66:69], v42 offset0:28 offset1:30
	ds_read2st64_b64 v[70:73], v42 offset0:16 offset1:18
	v_add_co_u32_e32 v78, vcc, s8, v76
	v_addc_co_u32_e32 v102, vcc, v80, v77, vcc
	global_load_dwordx4 v[74:77], v[74:75], off offset:16
	v_add_co_u32_e32 v93, vcc, s1, v78
	v_addc_co_u32_e32 v94, vcc, 0, v102, vcc
	v_mul_i32_i24_e32 v121, 0xffffffe8, v85
	v_mul_i32_i24_e32 v122, 0xffffffe8, v86
	;; [unrolled: 1-line block ×3, first 2 shown]
	global_load_dwordx4 v[85:88], v[93:94], off offset:32
	global_load_dwordx4 v[89:92], v[93:94], off offset:16
	v_add_u32_e32 v45, v45, v101
	v_add_co_u32_e32 v101, vcc, s0, v78
	v_mul_u32_u24_e32 v103, 3, v0
	v_addc_co_u32_e32 v102, vcc, 0, v102, vcc
	ds_read2st64_b64 v[93:96], v42 offset0:36 offset1:38
	ds_read2st64_b64 v[97:100], v42 offset0:24 offset1:26
	v_lshlrev_b32_e32 v107, 4, v103
	global_load_dwordx4 v[101:104], v[101:102], off offset:1984
	v_mul_i32_i24_e32 v78, 3, v84
	v_add_co_u32_e32 v119, vcc, s8, v107
	v_lshlrev_b64 v[78:79], 4, v[78:79]
	v_addc_co_u32_e32 v120, vcc, 0, v80, vcc
	ds_read_b64 v[105:106], v45
	v_add_co_u32_e32 v45, vcc, s8, v78
	v_addc_co_u32_e32 v80, vcc, v80, v79, vcc
	v_add_co_u32_e32 v111, vcc, s1, v45
	v_addc_co_u32_e32 v112, vcc, 0, v80, vcc
	v_add_co_u32_e32 v45, vcc, s0, v45
	v_add_u32_e32 v44, v44, v122
	v_add_u32_e32 v43, v43, v121
	s_waitcnt vmcnt(8) lgkmcnt(2)
	v_mul_f64 v[107:108], v[48:49], v[95:96]
	s_waitcnt vmcnt(7)
	v_mul_f64 v[78:79], v[9:10], v[52:53]
	v_mul_f64 v[52:53], v[66:67], v[52:53]
	s_waitcnt vmcnt(6)
	v_mul_f64 v[109:110], v[56:57], v[72:73]
	v_mul_f64 v[48:49], v[27:28], v[48:49]
	;; [unrolled: 1-line block ×3, first 2 shown]
	v_fma_f64 v[27:28], v[27:28], v[46:47], v[107:108]
	v_fma_f64 v[66:67], v[50:51], v[66:67], -v[78:79]
	v_fma_f64 v[9:10], v[9:10], v[50:51], v[52:53]
	v_fma_f64 v[31:32], v[31:32], v[54:55], v[109:110]
	v_fma_f64 v[49:50], v[46:47], v[95:96], -v[48:49]
	v_fma_f64 v[72:73], v[54:55], v[72:73], -v[56:57]
	v_addc_co_u32_e32 v46, vcc, 0, v80, vcc
	global_load_dwordx4 v[45:48], v[45:46], off offset:1984
	s_waitcnt lgkmcnt(0)
	v_add_f64 v[78:79], v[105:106], -v[66:67]
	v_add_f64 v[9:10], v[39:40], -v[9:10]
	;; [unrolled: 1-line block ×3, first 2 shown]
	s_waitcnt vmcnt(6)
	v_mul_f64 v[95:96], v[60:61], v[70:71]
	v_add_f64 v[66:67], v[72:73], -v[49:50]
	global_load_dwordx4 v[49:52], v[111:112], off offset:32
	global_load_dwordx4 v[53:56], v[111:112], off offset:16
	v_mul_f64 v[60:61], v[29:30], v[60:61]
	s_waitcnt vmcnt(7)
	v_mul_f64 v[115:116], v[25:26], v[64:65]
	v_fma_f64 v[113:114], v[105:106], 2.0, -v[78:79]
	v_fma_f64 v[39:40], v[39:40], 2.0, -v[9:10]
	v_fma_f64 v[31:32], v[31:32], 2.0, -v[27:28]
	v_mul_f64 v[105:106], v[64:65], v[93:94]
	v_fma_f64 v[72:73], v[72:73], 2.0, -v[66:67]
	v_fma_f64 v[95:96], v[29:30], v[58:59], v[95:96]
	v_fma_f64 v[117:118], v[58:59], v[70:71], -v[60:61]
	v_add_f64 v[29:30], v[78:79], -v[27:28]
	v_add_f64 v[27:28], v[9:10], v[66:67]
	v_add_f64 v[57:58], v[39:40], -v[31:32]
	v_add_co_u32_e32 v31, vcc, s1, v119
	v_addc_co_u32_e32 v32, vcc, 0, v120, vcc
	v_add_co_u32_e32 v107, vcc, s0, v119
	v_addc_co_u32_e32 v108, vcc, 0, v120, vcc
	v_add_f64 v[59:60], v[113:114], -v[72:73]
	global_load_dwordx4 v[64:67], v[31:32], off offset:16
	global_load_dwordx4 v[70:73], v[107:108], off offset:1984
	v_fma_f64 v[119:120], v[25:26], v[62:63], v[105:106]
	global_load_dwordx4 v[105:108], v[31:32], off offset:32
	v_fma_f64 v[109:110], v[9:10], 2.0, -v[27:28]
	s_waitcnt vmcnt(9)
	v_mul_f64 v[9:10], v[23:24], v[76:77]
	v_mul_f64 v[25:26], v[99:100], v[76:77]
	v_fma_f64 v[31:32], v[62:63], v[93:94], -v[115:116]
	s_waitcnt vmcnt(7)
	v_mul_f64 v[61:62], v[21:22], v[91:92]
	v_fma_f64 v[76:77], v[39:40], 2.0, -v[57:58]
	v_mul_f64 v[39:40], v[97:98], v[91:92]
	v_fma_f64 v[111:112], v[78:79], 2.0, -v[29:30]
	v_fma_f64 v[78:79], v[113:114], 2.0, -v[59:60]
	ds_read_b64 v[113:114], v44
	v_fma_f64 v[9:10], v[74:75], v[99:100], -v[9:10]
	v_fma_f64 v[74:75], v[23:24], v[74:75], v[25:26]
	ds_read2st64_b64 v[23:26], v42 offset0:12 offset1:14
	ds_read2st64_b64 v[91:94], v42 offset0:32 offset1:34
	v_fma_f64 v[61:62], v[89:90], v[97:98], -v[61:62]
	v_fma_f64 v[39:40], v[21:22], v[89:90], v[39:40]
	s_waitcnt vmcnt(6)
	v_mul_f64 v[21:22], v[19:20], v[103:104]
	v_mul_f64 v[89:90], v[15:16], v[87:88]
	s_waitcnt lgkmcnt(1)
	v_mul_f64 v[97:98], v[103:104], v[25:26]
	s_waitcnt lgkmcnt(0)
	v_mul_f64 v[87:88], v[87:88], v[93:94]
	v_add_f64 v[9:10], v[113:114], -v[9:10]
	v_add_f64 v[99:100], v[95:96], -v[119:120]
	ds_read_b64 v[43:44], v43
	v_add_f64 v[39:40], v[35:36], -v[39:40]
	v_fma_f64 v[25:26], v[101:102], v[25:26], -v[21:22]
	v_fma_f64 v[89:90], v[85:86], v[93:94], -v[89:90]
	v_fma_f64 v[93:94], v[19:20], v[101:102], v[97:98]
	v_add_f64 v[19:20], v[117:118], -v[31:32]
	v_fma_f64 v[15:16], v[15:16], v[85:86], v[87:88]
	v_add_f64 v[31:32], v[37:38], -v[74:75]
	v_add_f64 v[21:22], v[9:10], -v[99:100]
	v_fma_f64 v[74:75], v[113:114], 2.0, -v[9:10]
	s_waitcnt lgkmcnt(0)
	v_add_f64 v[61:62], v[43:44], -v[61:62]
	v_add_f64 v[85:86], v[25:26], -v[89:90]
	v_fma_f64 v[95:96], v[95:96], 2.0, -v[99:100]
	v_fma_f64 v[87:88], v[117:118], 2.0, -v[19:20]
	v_add_f64 v[15:16], v[93:94], -v[15:16]
	v_fma_f64 v[89:90], v[37:38], 2.0, -v[31:32]
	ds_read2st64_b64 v[117:120], v42 offset0:20 offset1:22
	v_add_f64 v[19:20], v[31:32], v[19:20]
	v_fma_f64 v[43:44], v[43:44], 2.0, -v[61:62]
	v_fma_f64 v[25:26], v[25:26], 2.0, -v[85:86]
	;; [unrolled: 1-line block ×3, first 2 shown]
	v_add_f64 v[37:38], v[74:75], -v[87:88]
	v_fma_f64 v[87:88], v[9:10], 2.0, -v[21:22]
	v_fma_f64 v[97:98], v[93:94], 2.0, -v[15:16]
	v_add_f64 v[93:94], v[39:40], v[85:86]
	v_fma_f64 v[85:86], v[31:32], 2.0, -v[19:20]
	v_add_f64 v[35:36], v[89:90], -v[95:96]
	s_waitcnt vmcnt(5)
	v_mul_f64 v[9:10], v[47:48], v[23:24]
	v_add_f64 v[99:100], v[43:44], -v[25:26]
	v_add_f64 v[95:96], v[61:62], -v[15:16]
	v_fma_f64 v[103:104], v[74:75], 2.0, -v[37:38]
	v_add_f64 v[97:98], v[121:122], -v[97:98]
	s_waitcnt vmcnt(4)
	v_mul_f64 v[31:32], v[51:52], v[91:92]
	v_fma_f64 v[113:114], v[39:40], 2.0, -v[93:94]
	v_mul_i32_i24_e32 v39, 0xffffffe8, v84
	v_fma_f64 v[25:26], v[17:18], v[45:46], v[9:10]
	s_waitcnt vmcnt(3) lgkmcnt(0)
	v_mul_f64 v[9:10], v[119:120], v[55:56]
	v_mul_f64 v[17:18], v[17:18], v[47:48]
	v_mul_f64 v[15:16], v[7:8], v[55:56]
	v_add_u32_e32 v55, v41, v39
	v_fma_f64 v[123:124], v[43:44], 2.0, -v[99:100]
	v_fma_f64 v[31:32], v[13:14], v[49:50], v[31:32]
	v_mul_f64 v[13:14], v[13:14], v[51:52]
	v_fma_f64 v[121:122], v[121:122], 2.0, -v[97:98]
	v_fma_f64 v[39:40], v[7:8], v[53:54], v[9:10]
	ds_read2st64_b64 v[7:10], v42 offset1:10
	v_fma_f64 v[17:18], v[45:46], v[23:24], -v[17:18]
	v_fma_f64 v[15:16], v[53:54], v[119:120], -v[15:16]
	ds_read_b64 v[53:54], v55
	v_fma_f64 v[115:116], v[61:62], 2.0, -v[95:96]
	v_fma_f64 v[13:14], v[49:50], v[91:92], -v[13:14]
	v_fma_f64 v[101:102], v[89:90], 2.0, -v[35:36]
	v_add_f64 v[39:40], v[33:34], -v[39:40]
	s_waitcnt vmcnt(2)
	v_mul_f64 v[23:24], v[5:6], v[66:67]
	s_waitcnt vmcnt(1) lgkmcnt(1)
	v_mul_f64 v[41:42], v[72:73], v[9:10]
	v_mul_f64 v[43:44], v[3:4], v[72:73]
	s_waitcnt vmcnt(0)
	v_mul_f64 v[45:46], v[11:12], v[107:108]
	v_mul_f64 v[47:48], v[117:118], v[66:67]
	;; [unrolled: 1-line block ×3, first 2 shown]
	v_add_f64 v[13:14], v[17:18], -v[13:14]
	v_fma_f64 v[23:24], v[64:65], v[117:118], -v[23:24]
	v_fma_f64 v[3:4], v[3:4], v[70:71], v[41:42]
	v_fma_f64 v[9:10], v[70:71], v[9:10], -v[43:44]
	v_fma_f64 v[41:42], v[105:106], v[68:69], -v[45:46]
	v_fma_f64 v[5:6], v[5:6], v[64:65], v[47:48]
	v_fma_f64 v[11:12], v[11:12], v[105:106], v[51:52]
	s_waitcnt lgkmcnt(0)
	v_add_f64 v[43:44], v[53:54], -v[15:16]
	v_add_f64 v[15:16], v[25:26], -v[31:32]
	;; [unrolled: 1-line block ×6, first 2 shown]
	v_fma_f64 v[5:6], v[17:18], 2.0, -v[13:14]
	v_fma_f64 v[17:18], v[33:34], 2.0, -v[39:40]
	;; [unrolled: 1-line block ×8, first 2 shown]
	v_add_f64 v[3:4], v[43:44], -v[15:16]
	v_add_f64 v[1:2], v[39:40], v[13:14]
	v_add_f64 v[11:12], v[45:46], -v[11:12]
	v_add_f64 v[9:10], v[47:48], v[23:24]
	v_add_f64 v[7:8], v[31:32], -v[5:6]
	v_add_f64 v[15:16], v[49:50], -v[33:34]
	;; [unrolled: 1-line block ×4, first 2 shown]
	v_fma_f64 v[25:26], v[43:44], 2.0, -v[3:4]
	v_fma_f64 v[23:24], v[39:40], 2.0, -v[1:2]
	;; [unrolled: 1-line block ×8, first 2 shown]
	v_mov_b32_e32 v17, s3
	v_add_co_u32_e32 v47, vcc, s2, v81
	v_addc_co_u32_e32 v48, vcc, v17, v82, vcc
	v_add_co_u32_e32 v17, vcc, v47, v83
	v_addc_co_u32_e32 v18, vcc, 0, v48, vcc
	global_store_dwordx4 v[17:18], v[43:46], off
	s_nop 0
	v_add_co_u32_e32 v43, vcc, s0, v17
	v_addc_co_u32_e32 v44, vcc, 0, v18, vcc
	s_movk_i32 s0, 0x5000
	global_store_dwordx4 v[43:44], v[39:42], off offset:2048
	s_nop 0
	v_add_co_u32_e32 v39, vcc, s0, v17
	v_addc_co_u32_e32 v40, vcc, 0, v18, vcc
	s_movk_i32 s0, 0x7000
	global_store_dwordx4 v[39:40], v[13:16], off
	s_nop 0
	v_add_co_u32_e32 v13, vcc, s0, v17
	v_addc_co_u32_e32 v14, vcc, 0, v18, vcc
	global_store_dwordx4 v[13:14], v[9:12], off offset:2048
	global_store_dwordx4 v[17:18], v[31:34], off offset:2048
	v_or_b32_e32 v9, 0x3000, v83
	v_add_co_u32_e32 v9, vcc, v47, v9
	v_addc_co_u32_e32 v10, vcc, 0, v48, vcc
	global_store_dwordx4 v[9:10], v[23:26], off
	v_or_b32_e32 v9, 0x5800, v83
	v_add_co_u32_e32 v9, vcc, v47, v9
	v_addc_co_u32_e32 v10, vcc, 0, v48, vcc
	global_store_dwordx4 v[9:10], v[5:8], off
	s_nop 0
	v_or_b32_e32 v5, 0x8000, v83
	v_add_co_u32_e32 v5, vcc, v47, v5
	v_addc_co_u32_e32 v6, vcc, 0, v48, vcc
	global_store_dwordx4 v[5:6], v[1:4], off
	s_nop 0
	v_or_b32_e32 v1, 0x1000, v83
	v_add_co_u32_e32 v1, vcc, v47, v1
	v_addc_co_u32_e32 v2, vcc, 0, v48, vcc
	global_store_dwordx4 v[1:2], v[121:124], off
	v_mov_b32_e32 v1, 0x3800
	v_lshl_or_b32 v0, v0, 4, v1
	v_add_co_u32_e32 v0, vcc, v47, v0
	v_addc_co_u32_e32 v1, vcc, 0, v48, vcc
	global_store_dwordx4 v[0:1], v[113:116], off
	v_or_b32_e32 v0, 0x6000, v83
	v_add_co_u32_e32 v0, vcc, v47, v0
	v_addc_co_u32_e32 v1, vcc, 0, v48, vcc
	global_store_dwordx4 v[0:1], v[97:100], off
	v_or_b32_e32 v0, 0x8800, v83
	;; [unrolled: 4-line block ×10, first 2 shown]
	v_add_co_u32_e32 v0, vcc, v47, v0
	v_addc_co_u32_e32 v1, vcc, 0, v48, vcc
	global_store_dwordx4 v[0:1], v[27:30], off
.LBB0_15:
	s_endpgm
	.section	.rodata,"a",@progbits
	.p2align	6, 0x0
	.amdhsa_kernel fft_rtc_back_len2560_factors_4_4_4_10_4_wgs_128_tpt_128_halfLds_dp_ip_CI_unitstride_sbrr_dirReg
		.amdhsa_group_segment_fixed_size 0
		.amdhsa_private_segment_fixed_size 0
		.amdhsa_kernarg_size 88
		.amdhsa_user_sgpr_count 6
		.amdhsa_user_sgpr_private_segment_buffer 1
		.amdhsa_user_sgpr_dispatch_ptr 0
		.amdhsa_user_sgpr_queue_ptr 0
		.amdhsa_user_sgpr_kernarg_segment_ptr 1
		.amdhsa_user_sgpr_dispatch_id 0
		.amdhsa_user_sgpr_flat_scratch_init 0
		.amdhsa_user_sgpr_private_segment_size 0
		.amdhsa_uses_dynamic_stack 0
		.amdhsa_system_sgpr_private_segment_wavefront_offset 0
		.amdhsa_system_sgpr_workgroup_id_x 1
		.amdhsa_system_sgpr_workgroup_id_y 0
		.amdhsa_system_sgpr_workgroup_id_z 0
		.amdhsa_system_sgpr_workgroup_info 0
		.amdhsa_system_vgpr_workitem_id 0
		.amdhsa_next_free_vgpr 132
		.amdhsa_next_free_sgpr 22
		.amdhsa_reserve_vcc 1
		.amdhsa_reserve_flat_scratch 0
		.amdhsa_float_round_mode_32 0
		.amdhsa_float_round_mode_16_64 0
		.amdhsa_float_denorm_mode_32 3
		.amdhsa_float_denorm_mode_16_64 3
		.amdhsa_dx10_clamp 1
		.amdhsa_ieee_mode 1
		.amdhsa_fp16_overflow 0
		.amdhsa_exception_fp_ieee_invalid_op 0
		.amdhsa_exception_fp_denorm_src 0
		.amdhsa_exception_fp_ieee_div_zero 0
		.amdhsa_exception_fp_ieee_overflow 0
		.amdhsa_exception_fp_ieee_underflow 0
		.amdhsa_exception_fp_ieee_inexact 0
		.amdhsa_exception_int_div_zero 0
	.end_amdhsa_kernel
	.text
.Lfunc_end0:
	.size	fft_rtc_back_len2560_factors_4_4_4_10_4_wgs_128_tpt_128_halfLds_dp_ip_CI_unitstride_sbrr_dirReg, .Lfunc_end0-fft_rtc_back_len2560_factors_4_4_4_10_4_wgs_128_tpt_128_halfLds_dp_ip_CI_unitstride_sbrr_dirReg
                                        ; -- End function
	.section	.AMDGPU.csdata,"",@progbits
; Kernel info:
; codeLenInByte = 11984
; NumSgprs: 26
; NumVgprs: 132
; ScratchSize: 0
; MemoryBound: 1
; FloatMode: 240
; IeeeMode: 1
; LDSByteSize: 0 bytes/workgroup (compile time only)
; SGPRBlocks: 3
; VGPRBlocks: 32
; NumSGPRsForWavesPerEU: 26
; NumVGPRsForWavesPerEU: 132
; Occupancy: 1
; WaveLimiterHint : 1
; COMPUTE_PGM_RSRC2:SCRATCH_EN: 0
; COMPUTE_PGM_RSRC2:USER_SGPR: 6
; COMPUTE_PGM_RSRC2:TRAP_HANDLER: 0
; COMPUTE_PGM_RSRC2:TGID_X_EN: 1
; COMPUTE_PGM_RSRC2:TGID_Y_EN: 0
; COMPUTE_PGM_RSRC2:TGID_Z_EN: 0
; COMPUTE_PGM_RSRC2:TIDIG_COMP_CNT: 0
	.type	__hip_cuid_2ef8f3648ef9fe44,@object ; @__hip_cuid_2ef8f3648ef9fe44
	.section	.bss,"aw",@nobits
	.globl	__hip_cuid_2ef8f3648ef9fe44
__hip_cuid_2ef8f3648ef9fe44:
	.byte	0                               ; 0x0
	.size	__hip_cuid_2ef8f3648ef9fe44, 1

	.ident	"AMD clang version 19.0.0git (https://github.com/RadeonOpenCompute/llvm-project roc-6.4.0 25133 c7fe45cf4b819c5991fe208aaa96edf142730f1d)"
	.section	".note.GNU-stack","",@progbits
	.addrsig
	.addrsig_sym __hip_cuid_2ef8f3648ef9fe44
	.amdgpu_metadata
---
amdhsa.kernels:
  - .args:
      - .actual_access:  read_only
        .address_space:  global
        .offset:         0
        .size:           8
        .value_kind:     global_buffer
      - .offset:         8
        .size:           8
        .value_kind:     by_value
      - .actual_access:  read_only
        .address_space:  global
        .offset:         16
        .size:           8
        .value_kind:     global_buffer
      - .actual_access:  read_only
        .address_space:  global
        .offset:         24
        .size:           8
        .value_kind:     global_buffer
      - .offset:         32
        .size:           8
        .value_kind:     by_value
      - .actual_access:  read_only
        .address_space:  global
        .offset:         40
        .size:           8
        .value_kind:     global_buffer
      - .actual_access:  read_only
        .address_space:  global
        .offset:         48
        .size:           8
        .value_kind:     global_buffer
      - .offset:         56
        .size:           4
        .value_kind:     by_value
      - .actual_access:  read_only
        .address_space:  global
        .offset:         64
        .size:           8
        .value_kind:     global_buffer
      - .actual_access:  read_only
        .address_space:  global
        .offset:         72
        .size:           8
        .value_kind:     global_buffer
      - .address_space:  global
        .offset:         80
        .size:           8
        .value_kind:     global_buffer
    .group_segment_fixed_size: 0
    .kernarg_segment_align: 8
    .kernarg_segment_size: 88
    .language:       OpenCL C
    .language_version:
      - 2
      - 0
    .max_flat_workgroup_size: 128
    .name:           fft_rtc_back_len2560_factors_4_4_4_10_4_wgs_128_tpt_128_halfLds_dp_ip_CI_unitstride_sbrr_dirReg
    .private_segment_fixed_size: 0
    .sgpr_count:     26
    .sgpr_spill_count: 0
    .symbol:         fft_rtc_back_len2560_factors_4_4_4_10_4_wgs_128_tpt_128_halfLds_dp_ip_CI_unitstride_sbrr_dirReg.kd
    .uniform_work_group_size: 1
    .uses_dynamic_stack: false
    .vgpr_count:     132
    .vgpr_spill_count: 0
    .wavefront_size: 64
amdhsa.target:   amdgcn-amd-amdhsa--gfx906
amdhsa.version:
  - 1
  - 2
...

	.end_amdgpu_metadata
